;; amdgpu-corpus repo=ROCm/rocFFT kind=compiled arch=gfx950 opt=O3
	.text
	.amdgcn_target "amdgcn-amd-amdhsa--gfx950"
	.amdhsa_code_object_version 6
	.protected	bluestein_single_back_len78_dim1_dp_op_CI_CI ; -- Begin function bluestein_single_back_len78_dim1_dp_op_CI_CI
	.globl	bluestein_single_back_len78_dim1_dp_op_CI_CI
	.p2align	8
	.type	bluestein_single_back_len78_dim1_dp_op_CI_CI,@function
bluestein_single_back_len78_dim1_dp_op_CI_CI: ; @bluestein_single_back_len78_dim1_dp_op_CI_CI
; %bb.0:
	s_load_dwordx4 s[16:19], s[0:1], 0x28
	v_mul_u32_u24_e32 v1, 0x13b2, v0
	v_lshrrev_b32_e32 v2, 16, v1
	v_mad_u64_u32 v[124:125], s[2:3], s2, 19, v[2:3]
	v_mov_b32_e32 v105, 0
	v_mov_b32_e32 v125, v105
	s_waitcnt lgkmcnt(0)
	v_cmp_gt_u64_e32 vcc, s[16:17], v[124:125]
	s_and_saveexec_b64 s[2:3], vcc
	s_cbranch_execz .LBB0_10
; %bb.1:
	s_load_dwordx4 s[8:11], s[0:1], 0x18
	s_load_dwordx4 s[4:7], s[0:1], 0x0
	v_mul_lo_u16_e32 v1, 13, v2
	v_sub_u16_e32 v125, v0, v1
	v_mov_b32_e32 v4, s18
	s_waitcnt lgkmcnt(0)
	s_load_dwordx4 s[12:15], s[8:9], 0x0
	v_mov_b32_e32 v5, s19
	v_mov_b32_e32 v10, 0xd0
	v_lshlrev_b32_e32 v104, 4, v125
	global_load_dwordx4 v[20:23], v104, s[4:5]
	s_waitcnt lgkmcnt(0)
	v_mad_u64_u32 v[0:1], s[2:3], s14, v124, 0
	v_mov_b32_e32 v2, v1
	v_mad_u64_u32 v[2:3], s[2:3], s15, v124, v[2:3]
	v_mov_b32_e32 v1, v2
	;; [unrolled: 2-line block ×4, first 2 shown]
	v_lshl_add_u64 v[0:1], v[0:1], 4, v[4:5]
	v_lshl_add_u64 v[0:1], v[2:3], 4, v[0:1]
	global_load_dwordx4 v[24:27], v[0:1], off
	v_mad_u64_u32 v[0:1], s[2:3], s12, v10, v[0:1]
	s_mul_i32 s8, s13, 0xd0
	v_add_u32_e32 v1, s8, v1
	global_load_dwordx4 v[12:15], v104, s[4:5] offset:208
	global_load_dwordx4 v[28:31], v[0:1], off
	v_mad_u64_u32 v[4:5], s[2:3], s12, v10, v[0:1]
	v_add_u32_e32 v5, s8, v5
	global_load_dwordx4 v[32:35], v[4:5], off
	global_load_dwordx4 v[0:3], v104, s[4:5] offset:416
	v_mad_u64_u32 v[4:5], s[2:3], s12, v10, v[4:5]
	v_add_u32_e32 v5, s8, v5
	global_load_dwordx4 v[16:19], v104, s[4:5] offset:624
	global_load_dwordx4 v[36:39], v[4:5], off
	v_mad_u64_u32 v[8:9], s[2:3], s12, v10, v[4:5]
	v_add_u32_e32 v9, s8, v9
	global_load_dwordx4 v[40:43], v[8:9], off
	global_load_dwordx4 v[252:255], v104, s[4:5] offset:832
	v_mad_u64_u32 v[48:49], s[2:3], s12, v10, v[8:9]
	v_add_u32_e32 v49, s8, v49
	global_load_dwordx4 v[8:11], v104, s[4:5] offset:1040
	global_load_dwordx4 v[44:47], v[48:49], off
	s_load_dwordx2 s[8:9], s[0:1], 0x38
	s_mov_b32 s0, 0xaf286bcb
	v_mul_hi_u32 v48, v124, s0
	v_sub_u32_e32 v49, v124, v48
	v_lshrrev_b32_e32 v49, 1, v49
	v_add_u32_e32 v48, v49, v48
	v_lshrrev_b32_e32 v48, 4, v48
	v_mul_lo_u32 v48, v48, 19
	v_sub_u32_e32 v48, v124, v48
	v_mul_u32_u24_e32 v48, 0x4e, v48
	v_lshlrev_b32_e32 v198, 4, v48
	v_add_u32_e32 v186, v104, v198
	s_load_dwordx4 s[0:3], s[10:11], 0x0
	s_mov_b32 s14, 0xe8584caa
	s_mov_b32 s15, 0x3febb67a
	;; [unrolled: 1-line block ×4, first 2 shown]
	v_cmp_gt_u16_e32 vcc, 6, v125
                                        ; implicit-def: $vgpr60_vgpr61
                                        ; implicit-def: $vgpr68_vgpr69
                                        ; implicit-def: $vgpr76_vgpr77
                                        ; implicit-def: $vgpr80_vgpr81
                                        ; implicit-def: $vgpr84_vgpr85
                                        ; implicit-def: $vgpr88_vgpr89
	s_waitcnt vmcnt(10)
	v_mul_f64 v[48:49], v[26:27], v[22:23]
	v_mul_f64 v[50:51], v[24:25], v[22:23]
	v_fmac_f64_e32 v[48:49], v[24:25], v[20:21]
	v_fma_f64 v[50:51], v[26:27], v[20:21], -v[50:51]
	ds_write_b128 v186, v[48:51]
	s_waitcnt vmcnt(8)
	v_mul_f64 v[24:25], v[30:31], v[14:15]
	v_mul_f64 v[26:27], v[28:29], v[14:15]
	v_fmac_f64_e32 v[24:25], v[28:29], v[12:13]
	v_fma_f64 v[26:27], v[30:31], v[12:13], -v[26:27]
	ds_write_b128 v186, v[24:27] offset:208
	s_waitcnt vmcnt(6)
	v_mul_f64 v[24:25], v[34:35], v[2:3]
	v_mul_f64 v[26:27], v[32:33], v[2:3]
	v_fmac_f64_e32 v[24:25], v[32:33], v[0:1]
	v_fma_f64 v[26:27], v[34:35], v[0:1], -v[26:27]
	ds_write_b128 v186, v[24:27] offset:416
	;; [unrolled: 6-line block ×5, first 2 shown]
	s_waitcnt lgkmcnt(0)
	s_barrier
	ds_read_b128 v[24:27], v186 offset:416
	ds_read_b128 v[28:31], v186
	ds_read_b128 v[32:35], v186 offset:832
	ds_read_b128 v[36:39], v186 offset:208
	;; [unrolled: 1-line block ×4, first 2 shown]
	s_waitcnt lgkmcnt(4)
	v_add_f64 v[48:49], v[28:29], v[24:25]
	s_waitcnt lgkmcnt(3)
	v_add_f64 v[52:53], v[26:27], -v[34:35]
	v_add_f64 v[54:55], v[30:31], v[26:27]
	v_add_f64 v[26:27], v[26:27], v[34:35]
	;; [unrolled: 1-line block ×4, first 2 shown]
	v_fmac_f64_e32 v[30:31], -0.5, v[26:27]
	v_add_f64 v[24:25], v[24:25], -v[32:33]
	s_waitcnt lgkmcnt(0)
	v_add_f64 v[32:33], v[40:41], v[44:45]
	v_fma_f64 v[26:27], s[12:13], v[24:25], v[30:31]
	v_fmac_f64_e32 v[30:31], s[14:15], v[24:25]
	v_add_f64 v[24:25], v[36:37], v[40:41]
	v_fmac_f64_e32 v[36:37], -0.5, v[32:33]
	v_add_f64 v[32:33], v[42:43], -v[46:47]
	v_fmac_f64_e32 v[28:29], -0.5, v[50:51]
	v_add_f64 v[50:51], v[54:55], v[34:35]
	v_fma_f64 v[34:35], s[14:15], v[32:33], v[36:37]
	v_fmac_f64_e32 v[36:37], s[12:13], v[32:33]
	v_add_f64 v[32:33], v[38:39], v[42:43]
	v_add_f64 v[42:43], v[42:43], v[46:47]
	v_fmac_f64_e32 v[38:39], -0.5, v[42:43]
	v_add_f64 v[40:41], v[40:41], -v[44:45]
	v_fma_f64 v[42:43], s[12:13], v[40:41], v[38:39]
	v_fmac_f64_e32 v[38:39], s[14:15], v[40:41]
	v_mul_f64 v[56:57], v[42:43], s[14:15]
	v_mul_f64 v[58:59], v[36:37], -0.5
	v_add_f64 v[24:25], v[24:25], v[44:45]
	v_fmac_f64_e32 v[56:57], 0.5, v[34:35]
	v_fmac_f64_e32 v[58:59], s[14:15], v[38:39]
	v_mul_f64 v[34:35], v[34:35], s[12:13]
	v_mul_f64 v[38:39], v[38:39], -0.5
	v_fma_f64 v[54:55], s[14:15], v[52:53], v[28:29]
	v_fmac_f64_e32 v[28:29], s[12:13], v[52:53]
	v_add_f64 v[32:33], v[32:33], v[46:47]
	v_add_f64 v[72:73], v[48:49], v[24:25]
	v_fmac_f64_e32 v[34:35], 0.5, v[42:43]
	v_fmac_f64_e32 v[38:39], s[12:13], v[36:37]
	v_add_f64 v[52:53], v[48:49], -v[24:25]
	v_mul_lo_u16_e32 v24, 6, v125
	v_add_f64 v[40:41], v[54:55], v[56:57]
	v_add_f64 v[44:45], v[28:29], v[58:59]
	;; [unrolled: 1-line block ×5, first 2 shown]
	v_add_f64 v[64:65], v[54:55], -v[56:57]
	v_add_f64 v[48:49], v[28:29], -v[58:59]
	;; [unrolled: 1-line block ×5, first 2 shown]
	v_lshl_add_u32 v187, v24, 4, v198
	s_barrier
	ds_write_b128 v187, v[72:75]
	ds_write_b128 v187, v[40:43] offset:16
	ds_write_b128 v187, v[44:47] offset:32
	;; [unrolled: 1-line block ×5, first 2 shown]
	s_waitcnt lgkmcnt(0)
	s_barrier
	s_waitcnt lgkmcnt(0)
                                        ; implicit-def: $vgpr56_vgpr57
	s_and_saveexec_b64 s[10:11], vcc
	s_cbranch_execz .LBB0_3
; %bb.2:
	ds_read_b128 v[72:75], v186
	ds_read_b128 v[40:43], v186 offset:96
	ds_read_b128 v[44:47], v186 offset:192
	;; [unrolled: 1-line block ×12, first 2 shown]
.LBB0_3:
	s_or_b64 exec, exec, s[10:11]
	s_movk_i32 s10, 0xab
	v_mul_lo_u16_sdwa v24, v125, s10 dst_sel:DWORD dst_unused:UNUSED_PAD src0_sel:BYTE_0 src1_sel:DWORD
	v_lshrrev_b16_e32 v24, 10, v24
	v_mul_lo_u16_e32 v24, 6, v24
	v_sub_u16_e32 v24, v125, v24
	v_mul_lo_u16_e32 v24, 12, v24
	v_and_b32_e32 v24, 0xfc, v24
	v_lshlrev_b32_e32 v94, 4, v24
	global_load_dwordx4 v[36:39], v94, s[6:7] offset:48
	global_load_dwordx4 v[32:35], v94, s[6:7] offset:32
	;; [unrolled: 1-line block ×3, first 2 shown]
	global_load_dwordx4 v[24:27], v94, s[6:7]
	s_mov_b32 s26, 0x24c2f84
	s_mov_b32 s23, 0xbfddbe06
	;; [unrolled: 1-line block ×28, first 2 shown]
	v_lshl_add_u64 v[230:231], s[4:5], 0, v[104:105]
	s_waitcnt vmcnt(3) lgkmcnt(8)
	v_mul_f64 v[122:123], v[64:65], v[38:39]
	s_waitcnt vmcnt(2)
	v_mul_f64 v[120:121], v[52:53], v[34:35]
	s_waitcnt vmcnt(1)
	;; [unrolled: 2-line block ×3, first 2 shown]
	v_mul_f64 v[92:93], v[42:43], v[26:27]
	v_fma_f64 v[192:193], v[40:41], v[24:25], -v[92:93]
	v_mul_f64 v[116:117], v[40:41], v[26:27]
	v_mul_f64 v[40:41], v[46:47], v[30:31]
	v_fma_f64 v[194:195], v[44:45], v[28:29], -v[40:41]
	v_mul_f64 v[40:41], v[54:55], v[34:35]
	v_fma_f64 v[196:197], v[52:53], v[32:33], -v[40:41]
	v_mul_f64 v[40:41], v[66:67], v[38:39]
	v_fmac_f64_e32 v[116:117], v[42:43], v[24:25]
	v_fmac_f64_e32 v[118:119], v[46:47], v[28:29]
	;; [unrolled: 1-line block ×3, first 2 shown]
	v_fma_f64 v[200:201], v[64:65], v[36:37], -v[40:41]
	v_fmac_f64_e32 v[122:123], v[66:67], v[36:37]
	global_load_dwordx4 v[40:43], v94, s[6:7] offset:112
	global_load_dwordx4 v[44:47], v94, s[6:7] offset:96
	;; [unrolled: 1-line block ×4, first 2 shown]
	s_waitcnt vmcnt(3) lgkmcnt(4)
	v_mul_f64 v[140:141], v[68:69], v[42:43]
	s_waitcnt vmcnt(2)
	v_mul_f64 v[138:139], v[60:61], v[46:47]
	s_waitcnt vmcnt(1)
	;; [unrolled: 2-line block ×3, first 2 shown]
	v_mul_f64 v[92:93], v[50:51], v[66:67]
	v_fma_f64 v[206:207], v[48:49], v[64:65], -v[92:93]
	v_mul_f64 v[134:135], v[48:49], v[66:67]
	v_mul_f64 v[48:49], v[58:59], v[54:55]
	v_fma_f64 v[208:209], v[56:57], v[52:53], -v[48:49]
	v_mul_f64 v[48:49], v[62:63], v[46:47]
	v_fma_f64 v[212:213], v[60:61], v[44:45], -v[48:49]
	v_mul_f64 v[48:49], v[70:71], v[42:43]
	v_fmac_f64_e32 v[134:135], v[50:51], v[64:65]
	v_fmac_f64_e32 v[136:137], v[58:59], v[52:53]
	;; [unrolled: 1-line block ×3, first 2 shown]
	v_fma_f64 v[162:163], v[68:69], v[40:41], -v[48:49]
	v_fmac_f64_e32 v[140:141], v[70:71], v[40:41]
	global_load_dwordx4 v[48:51], v94, s[6:7] offset:176
	global_load_dwordx4 v[56:59], v94, s[6:7] offset:160
	;; [unrolled: 1-line block ×4, first 2 shown]
	s_mov_b32 s6, 0xe00740e9
	s_mov_b32 s7, 0x3fec55a7
	v_add_f64 v[128:129], v[134:135], -v[140:141]
	v_add_f64 v[126:127], v[206:207], -v[162:163]
	v_mul_f64 v[114:115], v[126:127], s[26:27]
	v_accvgpr_write_b32 a48, v114
	v_accvgpr_write_b32 a49, v115
	v_add_f64 v[184:185], v[136:137], -v[138:139]
	v_add_f64 v[144:145], v[208:209], -v[212:213]
	v_mul_f64 v[190:191], v[184:185], s[26:27]
	v_mul_f64 v[148:149], v[144:145], s[20:21]
	s_waitcnt vmcnt(3) lgkmcnt(0)
	v_mul_f64 v[156:157], v[88:89], v[50:51]
	s_waitcnt vmcnt(2)
	v_mul_f64 v[154:155], v[84:85], v[58:59]
	v_fmac_f64_e32 v[156:157], v[90:91], v[48:49]
	s_waitcnt vmcnt(0)
	v_mul_f64 v[92:93], v[78:79], v[70:71]
	v_fma_f64 v[164:165], v[76:77], v[68:69], -v[92:93]
	v_mul_f64 v[150:151], v[76:77], v[70:71]
	v_mul_f64 v[76:77], v[82:83], v[62:63]
	v_fma_f64 v[170:171], v[80:81], v[60:61], -v[76:77]
	v_mul_f64 v[76:77], v[86:87], v[58:59]
	v_fma_f64 v[214:215], v[84:85], v[56:57], -v[76:77]
	;; [unrolled: 2-line block ×3, first 2 shown]
	v_fmac_f64_e32 v[154:155], v[86:87], v[56:57]
	v_add_f64 v[84:85], v[192:193], -v[218:219]
	v_add_f64 v[86:87], v[116:117], -v[156:157]
	v_add_f64 v[166:167], v[192:193], v[218:219]
	v_mul_f64 v[4:5], v[86:87], s[22:23]
	v_mul_f64 v[6:7], v[84:85], s[26:27]
	v_add_f64 v[108:109], v[118:119], -v[154:155]
	v_add_f64 v[168:169], v[116:117], v[156:157]
	v_mul_f64 v[172:173], v[84:85], s[22:23]
	v_fma_f64 v[76:77], s[6:7], v[166:167], v[4:5]
	v_accvgpr_write_b32 a2, v6
	v_add_f64 v[202:203], v[194:195], v[214:215]
	v_add_f64 v[106:107], v[194:195], -v[214:215]
	v_mul_f64 v[232:233], v[108:109], s[28:29]
	v_fmac_f64_e32 v[150:151], v[78:79], v[68:69]
	v_add_f64 v[78:79], v[72:73], v[76:77]
	v_fma_f64 v[76:77], v[168:169], s[6:7], -v[172:173]
	v_mul_f64 v[174:175], v[86:87], s[28:29]
	v_accvgpr_write_b32 a3, v7
	v_fma_f64 v[98:99], v[168:169], s[14:15], -v[6:7]
	v_add_f64 v[204:205], v[118:119], v[154:155]
	v_mul_f64 v[6:7], v[106:107], s[28:29]
	v_fma_f64 v[110:111], s[10:11], v[202:203], v[232:233]
	v_mul_f64 v[152:153], v[80:81], v[62:63]
	v_add_f64 v[76:77], v[74:75], v[76:77]
	v_mul_f64 v[178:179], v[84:85], s[28:29]
	v_fma_f64 v[80:81], s[10:11], v[166:167], v[174:175]
	v_add_f64 v[78:79], v[110:111], v[78:79]
	v_fma_f64 v[110:111], v[204:205], s[10:11], -v[6:7]
	v_mul_f64 v[238:239], v[108:109], s[20:21]
	v_fmac_f64_e32 v[152:153], v[82:83], v[60:61]
	v_add_f64 v[80:81], v[72:73], v[80:81]
	v_fma_f64 v[82:83], v[168:169], s[10:11], -v[178:179]
	v_mul_f64 v[180:181], v[86:87], s[34:35]
	v_add_f64 v[76:77], v[110:111], v[76:77]
	v_mul_f64 v[248:249], v[106:107], s[20:21]
	v_fma_f64 v[110:111], s[18:19], v[202:203], v[238:239]
	v_add_f64 v[82:83], v[74:75], v[82:83]
	v_mul_f64 v[226:227], v[84:85], s[34:35]
	v_fma_f64 v[88:89], s[12:13], v[166:167], v[180:181]
	v_add_f64 v[80:81], v[110:111], v[80:81]
	v_fma_f64 v[110:111], v[204:205], s[18:19], -v[248:249]
	v_mul_f64 v[220:221], v[108:109], s[30:31]
	v_add_f64 v[88:89], v[72:73], v[88:89]
	v_fma_f64 v[90:91], v[168:169], s[12:13], -v[226:227]
	v_add_f64 v[82:83], v[110:111], v[82:83]
	v_mul_f64 v[112:113], v[106:107], s[30:31]
	v_fma_f64 v[110:111], s[16:17], v[202:203], v[220:221]
	v_add_f64 v[90:91], v[74:75], v[90:91]
	v_add_f64 v[88:89], v[110:111], v[88:89]
	v_fma_f64 v[110:111], v[204:205], s[16:17], -v[112:113]
	v_mul_f64 v[158:159], v[86:87], s[20:21]
	v_add_f64 v[90:91], v[110:111], v[90:91]
	v_mul_f64 v[110:111], v[108:109], s[36:37]
	v_accvgpr_write_b32 a15, v5
	v_mul_f64 v[236:237], v[84:85], s[20:21]
	v_fma_f64 v[92:93], s[18:19], v[166:167], v[158:159]
	v_accvgpr_write_b32 a16, v112
	v_accvgpr_write_b32 a18, v110
	;; [unrolled: 1-line block ×3, first 2 shown]
	v_add_f64 v[92:93], v[72:73], v[92:93]
	v_fma_f64 v[94:95], v[168:169], s[18:19], -v[236:237]
	v_mul_f64 v[4:5], v[86:87], s[26:27]
	v_accvgpr_write_b32 a17, v113
	v_mul_f64 v[112:113], v[106:107], s[36:37]
	v_accvgpr_write_b32 a19, v111
	v_fma_f64 v[110:111], s[14:15], v[202:203], v[110:111]
	v_add_f64 v[94:95], v[74:75], v[94:95]
	v_fma_f64 v[96:97], s[14:15], v[166:167], v[4:5]
	v_add_f64 v[92:93], v[110:111], v[92:93]
	v_fma_f64 v[110:111], v[204:205], s[14:15], -v[112:113]
	v_mul_f64 v[210:211], v[108:109], s[24:25]
	v_add_f64 v[96:97], v[72:73], v[96:97]
	v_mul_f64 v[86:87], v[86:87], s[30:31]
	v_add_f64 v[94:95], v[110:111], v[94:95]
	v_mul_f64 v[216:217], v[106:107], s[24:25]
	v_fma_f64 v[110:111], s[12:13], v[202:203], v[210:211]
	s_mov_b32 s23, 0x3fddbe06
	v_add_f64 v[98:99], v[74:75], v[98:99]
	v_fma_f64 v[100:101], v[166:167], s[16:17], -v[86:87]
	v_mul_f64 v[84:85], v[84:85], s[30:31]
	v_fmac_f64_e32 v[86:87], s[16:17], v[166:167]
	v_add_f64 v[96:97], v[110:111], v[96:97]
	v_fma_f64 v[110:111], v[204:205], s[12:13], -v[216:217]
	v_mul_f64 v[108:109], v[108:109], s[22:23]
	v_add_f64 v[100:101], v[72:73], v[100:101]
	v_fma_f64 v[102:103], s[16:17], v[168:169], v[84:85]
	v_add_f64 v[86:87], v[72:73], v[86:87]
	v_add_f64 v[98:99], v[110:111], v[98:99]
	v_fma_f64 v[110:111], v[202:203], s[6:7], -v[108:109]
	v_mul_f64 v[106:107], v[106:107], s[22:23]
	v_fmac_f64_e32 v[108:109], s[6:7], v[202:203]
	v_add_f64 v[102:103], v[74:75], v[102:103]
	v_fma_f64 v[84:85], v[168:169], s[16:17], -v[84:85]
	v_add_f64 v[100:101], v[110:111], v[100:101]
	v_fma_f64 v[110:111], s[6:7], v[204:205], v[106:107]
	v_add_f64 v[86:87], v[108:109], v[86:87]
	v_add_f64 v[108:109], v[120:121], -v[152:153]
	v_add_f64 v[84:85], v[74:75], v[84:85]
	v_add_f64 v[102:103], v[110:111], v[102:103]
	v_fma_f64 v[106:107], v[204:205], s[6:7], -v[106:107]
	v_mul_f64 v[110:111], v[108:109], s[34:35]
	v_accvgpr_write_b32 a4, v112
	v_add_f64 v[84:85], v[106:107], v[84:85]
	v_add_f64 v[222:223], v[196:197], v[170:171]
	v_add_f64 v[106:107], v[196:197], -v[170:171]
	v_accvgpr_write_b32 a20, v110
	v_accvgpr_write_b32 a5, v113
	v_add_f64 v[224:225], v[120:121], v[152:153]
	v_mul_f64 v[112:113], v[106:107], s[34:35]
	v_accvgpr_write_b32 a21, v111
	v_fma_f64 v[110:111], s[12:13], v[222:223], v[110:111]
	v_add_f64 v[78:79], v[110:111], v[78:79]
	v_fma_f64 v[110:111], v[224:225], s[12:13], -v[112:113]
	v_add_f64 v[76:77], v[110:111], v[76:77]
	v_mul_f64 v[110:111], v[108:109], s[30:31]
	v_accvgpr_write_b32 a22, v112
	v_accvgpr_write_b32 a24, v110
	;; [unrolled: 1-line block ×3, first 2 shown]
	v_mul_f64 v[112:113], v[106:107], s[30:31]
	v_accvgpr_write_b32 a25, v111
	v_fma_f64 v[110:111], s[16:17], v[222:223], v[110:111]
	v_add_f64 v[80:81], v[110:111], v[80:81]
	v_fma_f64 v[110:111], v[224:225], s[16:17], -v[112:113]
	v_add_f64 v[82:83], v[110:111], v[82:83]
	v_mul_f64 v[110:111], v[108:109], s[38:39]
	v_accvgpr_write_b32 a26, v112
	v_accvgpr_write_b32 a28, v110
	;; [unrolled: 1-line block ×3, first 2 shown]
	v_mul_f64 v[112:113], v[106:107], s[38:39]
	v_accvgpr_write_b32 a29, v111
	v_fma_f64 v[110:111], s[18:19], v[222:223], v[110:111]
	v_add_f64 v[88:89], v[110:111], v[88:89]
	v_fma_f64 v[110:111], v[224:225], s[18:19], -v[112:113]
	v_add_f64 v[90:91], v[110:111], v[90:91]
	v_mul_f64 v[110:111], v[108:109], s[22:23]
	v_accvgpr_write_b32 a32, v110
	v_mul_f64 v[228:229], v[106:107], s[22:23]
	v_accvgpr_write_b32 a33, v111
	v_fma_f64 v[110:111], s[6:7], v[222:223], v[110:111]
	v_add_f64 v[92:93], v[110:111], v[92:93]
	v_fma_f64 v[110:111], v[224:225], s[6:7], -v[228:229]
	v_mul_f64 v[234:235], v[108:109], s[28:29]
	v_add_f64 v[94:95], v[110:111], v[94:95]
	v_mul_f64 v[240:241], v[106:107], s[28:29]
	v_fma_f64 v[110:111], s[10:11], v[222:223], v[234:235]
	v_add_f64 v[96:97], v[110:111], v[96:97]
	v_fma_f64 v[110:111], v[224:225], s[10:11], -v[240:241]
	v_mul_f64 v[108:109], v[108:109], s[26:27]
	v_add_f64 v[98:99], v[110:111], v[98:99]
	v_fma_f64 v[110:111], v[222:223], s[14:15], -v[108:109]
	v_mul_f64 v[106:107], v[106:107], s[26:27]
	v_fmac_f64_e32 v[108:109], s[14:15], v[222:223]
	v_add_f64 v[100:101], v[110:111], v[100:101]
	v_fma_f64 v[110:111], s[14:15], v[224:225], v[106:107]
	v_add_f64 v[86:87], v[108:109], v[86:87]
	v_add_f64 v[108:109], v[122:123], -v[150:151]
	v_add_f64 v[102:103], v[110:111], v[102:103]
	v_fma_f64 v[106:107], v[224:225], s[14:15], -v[106:107]
	v_mul_f64 v[110:111], v[108:109], s[20:21]
	v_accvgpr_write_b32 a30, v112
	v_add_f64 v[84:85], v[106:107], v[84:85]
	v_add_f64 v[242:243], v[200:201], v[164:165]
	v_add_f64 v[106:107], v[200:201], -v[164:165]
	v_accvgpr_write_b32 a34, v110
	v_accvgpr_write_b32 a31, v113
	v_add_f64 v[244:245], v[122:123], v[150:151]
	v_mul_f64 v[112:113], v[106:107], s[20:21]
	v_accvgpr_write_b32 a35, v111
	v_fma_f64 v[110:111], s[18:19], v[242:243], v[110:111]
	v_add_f64 v[78:79], v[110:111], v[78:79]
	v_fma_f64 v[110:111], v[244:245], s[18:19], -v[112:113]
	v_add_f64 v[76:77], v[110:111], v[76:77]
	v_mul_f64 v[110:111], v[108:109], s[36:37]
	v_accvgpr_write_b32 a36, v112
	v_accvgpr_write_b32 a38, v110
	v_accvgpr_write_b32 a37, v113
	v_mul_f64 v[112:113], v[106:107], s[36:37]
	v_accvgpr_write_b32 a39, v111
	v_fma_f64 v[110:111], s[14:15], v[242:243], v[110:111]
	v_add_f64 v[80:81], v[110:111], v[80:81]
	v_fma_f64 v[110:111], v[244:245], s[14:15], -v[112:113]
	v_add_f64 v[82:83], v[110:111], v[82:83]
	v_mul_f64 v[110:111], v[108:109], s[22:23]
	v_accvgpr_write_b32 a40, v112
	v_accvgpr_write_b32 a42, v110
	v_accvgpr_write_b32 a41, v113
	v_mul_f64 v[112:113], v[106:107], s[22:23]
	v_accvgpr_write_b32 a43, v111
	v_fma_f64 v[110:111], s[6:7], v[242:243], v[110:111]
	v_add_f64 v[88:89], v[110:111], v[88:89]
	v_fma_f64 v[110:111], v[244:245], s[6:7], -v[112:113]
	v_mul_f64 v[246:247], v[108:109], s[34:35]
	v_add_f64 v[90:91], v[110:111], v[90:91]
	v_mul_f64 v[250:251], v[106:107], s[34:35]
	v_fma_f64 v[110:111], s[12:13], v[242:243], v[246:247]
	s_mov_b32 s37, 0x3fcea1e5
	s_mov_b32 s36, s30
	v_accvgpr_write_b32 a44, v112
	v_add_f64 v[92:93], v[110:111], v[92:93]
	v_fma_f64 v[110:111], v[244:245], s[12:13], -v[250:251]
	v_mul_f64 v[160:161], v[108:109], s[36:37]
	v_accvgpr_write_b32 a45, v113
	v_add_f64 v[94:95], v[110:111], v[94:95]
	v_mul_f64 v[112:113], v[106:107], s[36:37]
	v_fma_f64 v[110:111], s[16:17], v[242:243], v[160:161]
	s_mov_b32 s35, 0x3fea55e2
	s_mov_b32 s34, s28
	v_add_f64 v[96:97], v[110:111], v[96:97]
	v_fma_f64 v[110:111], v[244:245], s[16:17], -v[112:113]
	v_mul_f64 v[108:109], v[108:109], s[34:35]
	v_add_f64 v[98:99], v[110:111], v[98:99]
	v_fma_f64 v[110:111], v[242:243], s[10:11], -v[108:109]
	v_mul_f64 v[106:107], v[106:107], s[34:35]
	v_add_f64 v[100:101], v[110:111], v[100:101]
	v_fma_f64 v[110:111], s[10:11], v[244:245], v[106:107]
	v_fma_f64 v[106:107], v[244:245], s[10:11], -v[106:107]
	v_fmac_f64_e32 v[108:109], s[10:11], v[242:243]
	v_add_f64 v[84:85], v[106:107], v[84:85]
	v_mul_f64 v[106:107], v[128:129], s[26:27]
	v_add_f64 v[86:87], v[108:109], v[86:87]
	v_add_f64 v[108:109], v[206:207], v[162:163]
	v_accvgpr_write_b32 a46, v106
	v_add_f64 v[102:103], v[110:111], v[102:103]
	v_add_f64 v[110:111], v[134:135], v[140:141]
	v_accvgpr_write_b32 a47, v107
	v_fma_f64 v[106:107], s[14:15], v[108:109], v[106:107]
	v_add_f64 v[78:79], v[106:107], v[78:79]
	v_fma_f64 v[106:107], v[110:111], s[14:15], -v[114:115]
	v_add_f64 v[132:133], v[106:107], v[76:77]
	v_mul_f64 v[76:77], v[128:129], s[24:25]
	v_accvgpr_write_b32 a50, v76
	v_mul_f64 v[106:107], v[126:127], s[24:25]
	v_accvgpr_write_b32 a51, v77
	v_fma_f64 v[76:77], s[12:13], v[108:109], v[76:77]
	v_add_f64 v[80:81], v[76:77], v[80:81]
	v_fma_f64 v[76:77], v[110:111], s[12:13], -v[106:107]
	v_add_f64 v[82:83], v[76:77], v[82:83]
	v_mul_f64 v[76:77], v[128:129], s[28:29]
	v_accvgpr_write_b32 a52, v106
	v_accvgpr_write_b32 a54, v76
	;; [unrolled: 1-line block ×3, first 2 shown]
	v_mul_f64 v[106:107], v[126:127], s[28:29]
	v_accvgpr_write_b32 a55, v77
	v_fma_f64 v[76:77], s[10:11], v[108:109], v[76:77]
	v_add_f64 v[142:143], v[76:77], v[88:89]
	v_accvgpr_write_b32 a56, v106
	v_fma_f64 v[76:77], v[110:111], s[10:11], -v[106:107]
	v_mul_f64 v[114:115], v[128:129], s[36:37]
	v_accvgpr_write_b32 a57, v107
	v_add_f64 v[146:147], v[76:77], v[90:91]
	v_mul_f64 v[106:107], v[126:127], s[36:37]
	v_fma_f64 v[76:77], s[16:17], v[108:109], v[114:115]
	v_add_f64 v[88:89], v[76:77], v[92:93]
	v_fma_f64 v[76:77], v[110:111], s[16:17], -v[106:107]
	v_mul_f64 v[130:131], v[128:129], s[22:23]
	v_add_f64 v[90:91], v[76:77], v[94:95]
	v_mul_f64 v[176:177], v[126:127], s[22:23]
	v_fma_f64 v[76:77], s[6:7], v[108:109], v[130:131]
	v_add_f64 v[92:93], v[76:77], v[96:97]
	v_fma_f64 v[76:77], v[110:111], s[6:7], -v[176:177]
	v_add_f64 v[94:95], v[76:77], v[98:99]
	v_mul_f64 v[76:77], v[128:129], s[20:21]
	v_fma_f64 v[96:97], v[108:109], s[18:19], -v[76:77]
	v_mul_f64 v[126:127], v[126:127], s[20:21]
	v_fmac_f64_e32 v[76:77], s[18:19], v[108:109]
	v_add_f64 v[96:97], v[96:97], v[100:101]
	v_fma_f64 v[98:99], s[18:19], v[110:111], v[126:127]
	v_add_f64 v[100:101], v[76:77], v[86:87]
	v_fma_f64 v[76:77], v[110:111], s[18:19], -v[126:127]
	v_add_f64 v[98:99], v[98:99], v[102:103]
	v_add_f64 v[102:103], v[76:77], v[84:85]
	v_mul_f64 v[76:77], v[184:185], s[30:31]
	v_add_f64 v[126:127], v[208:209], v[212:213]
	v_mul_f64 v[84:85], v[144:145], s[30:31]
	v_accvgpr_write_b32 a58, v76
	v_add_f64 v[128:129], v[136:137], v[138:139]
	v_accvgpr_write_b32 a59, v77
	v_fma_f64 v[76:77], s[16:17], v[126:127], v[76:77]
	v_accvgpr_write_b32 a60, v84
	v_add_f64 v[76:77], v[76:77], v[78:79]
	v_accvgpr_write_b32 a61, v85
	v_fma_f64 v[78:79], v[128:129], s[16:17], -v[84:85]
	v_mul_f64 v[84:85], v[184:185], s[22:23]
	v_accvgpr_write_b32 a62, v84
	v_mul_f64 v[86:87], v[144:145], s[22:23]
	v_accvgpr_write_b32 a63, v85
	v_fma_f64 v[84:85], s[6:7], v[126:127], v[84:85]
	v_add_f64 v[78:79], v[78:79], v[132:133]
	v_add_f64 v[80:81], v[84:85], v[80:81]
	v_accvgpr_write_b32 a64, v86
	v_fma_f64 v[84:85], v[128:129], s[6:7], -v[86:87]
	v_mul_f64 v[132:133], v[144:145], s[26:27]
	v_accvgpr_write_b32 a65, v87
	v_add_f64 v[82:83], v[84:85], v[82:83]
	v_fma_f64 v[84:85], s[14:15], v[126:127], v[190:191]
	v_fma_f64 v[86:87], v[128:129], s[14:15], -v[132:133]
	v_mul_f64 v[182:183], v[184:185], s[34:35]
	v_add_f64 v[84:85], v[84:85], v[142:143]
	v_add_f64 v[86:87], v[86:87], v[146:147]
	v_mul_f64 v[142:143], v[144:145], s[34:35]
	v_fma_f64 v[146:147], s[10:11], v[126:127], v[182:183]
	v_add_f64 v[88:89], v[146:147], v[88:89]
	v_fma_f64 v[146:147], v[128:129], s[10:11], -v[142:143]
	v_add_f64 v[90:91], v[146:147], v[90:91]
	v_mul_f64 v[146:147], v[184:185], s[20:21]
	v_fma_f64 v[188:189], s[18:19], v[126:127], v[146:147]
	v_add_f64 v[92:93], v[188:189], v[92:93]
	v_fma_f64 v[188:189], v[128:129], s[18:19], -v[148:149]
	v_mul_f64 v[184:185], v[184:185], s[24:25]
	v_add_f64 v[94:95], v[188:189], v[94:95]
	v_fma_f64 v[188:189], v[126:127], s[12:13], -v[184:185]
	v_mul_f64 v[144:145], v[144:145], s[24:25]
	v_add_f64 v[96:97], v[188:189], v[96:97]
	v_fma_f64 v[188:189], s[12:13], v[128:129], v[144:145]
	v_fmac_f64_e32 v[184:185], s[12:13], v[126:127]
	v_fma_f64 v[144:145], v[128:129], s[12:13], -v[144:145]
	v_add_f64 v[98:99], v[188:189], v[98:99]
	v_add_f64 v[100:101], v[184:185], v[100:101]
	;; [unrolled: 1-line block ×3, first 2 shown]
	s_and_saveexec_b64 s[20:21], vcc
	s_cbranch_execz .LBB0_5
; %bb.4:
	v_mul_f64 v[144:145], v[166:167], s[6:7]
	v_accvgpr_write_b32 a72, v144
	v_mov_b64_e32 v[184:185], v[200:201]
	v_mul_f64 v[200:201], v[128:129], s[18:19]
	v_accvgpr_write_b32 a73, v145
	v_mul_f64 v[144:145], v[168:169], s[6:7]
	v_accvgpr_write_b32 a0, v230
	v_add_f64 v[148:149], v[148:149], v[200:201]
	v_mul_f64 v[200:201], v[110:111], s[6:7]
	v_accvgpr_write_b32 a74, v144
	v_accvgpr_write_b32 a1, v231
	v_accvgpr_write_b32 a68, v194
	v_add_f64 v[176:177], v[176:177], v[200:201]
	v_mul_f64 v[200:201], v[244:245], s[16:17]
	v_mov_b64_e32 v[230:231], v[158:159]
	v_mov_b64_e32 v[158:159], v[220:221]
	v_accvgpr_read_b32 v221, a3
	v_accvgpr_write_b32 a75, v145
	v_mul_f64 v[144:145], v[168:169], s[10:11]
	v_accvgpr_write_b32 a69, v195
	v_mul_f64 v[194:195], v[168:169], s[12:13]
	v_mov_b32_e32 v105, v198
	v_mul_f64 v[198:199], v[168:169], s[18:19]
	v_mul_f64 v[168:169], v[168:169], s[14:15]
	v_add_f64 v[112:113], v[112:113], v[200:201]
	v_mul_f64 v[200:201], v[224:225], s[10:11]
	v_accvgpr_read_b32 v220, a2
	v_add_f64 v[200:201], v[240:241], v[200:201]
	v_mul_f64 v[240:241], v[204:205], s[12:13]
	v_add_f64 v[168:169], v[220:221], v[168:169]
	v_add_f64 v[216:217], v[216:217], v[240:241]
	;; [unrolled: 1-line block ×7, first 2 shown]
	v_mul_f64 v[176:177], v[126:127], s[18:19]
	v_add_f64 v[146:147], v[176:177], -v[146:147]
	v_mul_f64 v[176:177], v[108:109], s[6:7]
	v_accvgpr_write_b32 a66, v192
	v_accvgpr_write_b32 a70, v196
	v_add_f64 v[130:131], v[176:177], -v[130:131]
	v_mul_f64 v[176:177], v[242:243], s[16:17]
	v_mul_f64 v[188:189], v[166:167], s[10:11]
	v_accvgpr_write_b32 a67, v193
	v_mul_f64 v[192:193], v[166:167], s[12:13]
	v_accvgpr_write_b32 a71, v197
	v_mul_f64 v[196:197], v[166:167], s[18:19]
	v_mul_f64 v[166:167], v[166:167], s[14:15]
	v_add_f64 v[160:161], v[176:177], -v[160:161]
	v_mul_f64 v[176:177], v[222:223], s[10:11]
	v_add_f64 v[176:177], v[176:177], -v[234:235]
	;; [unrolled: 2-line block ×3, first 2 shown]
	v_add_f64 v[210:211], v[234:235], -v[210:211]
	v_add_f64 v[166:167], v[72:73], v[166:167]
	v_add_f64 v[166:167], v[210:211], v[166:167]
	;; [unrolled: 1-line block ×4, first 2 shown]
	v_accvgpr_write_b32 a6, v252
	v_add_f64 v[130:131], v[130:131], v[160:161]
	v_accvgpr_read_b32 v4, a4
	v_accvgpr_write_b32 a7, v253
	v_accvgpr_write_b32 a8, v254
	;; [unrolled: 1-line block ×3, first 2 shown]
	v_mov_b64_e32 v[252:253], v[206:207]
	v_mul_f64 v[206:207], v[204:205], s[10:11]
	v_mul_f64 v[200:201], v[204:205], s[18:19]
	;; [unrolled: 1-line block ×4, first 2 shown]
	v_mov_b64_e32 v[254:255], v[208:209]
	v_mul_f64 v[208:209], v[222:223], s[12:13]
	v_mul_f64 v[210:211], v[224:225], s[12:13]
	;; [unrolled: 1-line block ×5, first 2 shown]
	v_add_f64 v[148:149], v[148:149], v[112:113]
	v_add_f64 v[146:147], v[146:147], v[130:131]
	v_mul_f64 v[112:113], v[224:225], s[18:19]
	v_mul_f64 v[130:131], v[222:223], s[6:7]
	v_mul_f64 v[222:223], v[224:225], s[6:7]
	v_mul_f64 v[224:225], v[128:129], s[10:11]
	v_accvgpr_read_b32 v5, a5
	v_add_f64 v[198:199], v[236:237], v[198:199]
	v_add_f64 v[142:143], v[142:143], v[224:225]
	v_mul_f64 v[224:225], v[110:111], s[16:17]
	v_add_f64 v[204:205], v[4:5], v[204:205]
	v_add_f64 v[198:199], v[74:75], v[198:199]
	;; [unrolled: 1-line block ×3, first 2 shown]
	v_mul_f64 v[224:225], v[244:245], s[12:13]
	v_add_f64 v[222:223], v[228:229], v[222:223]
	v_add_f64 v[198:199], v[204:205], v[198:199]
	;; [unrolled: 1-line block ×4, first 2 shown]
	v_accvgpr_write_b32 a5, v3
	v_add_f64 v[198:199], v[224:225], v[198:199]
	v_accvgpr_write_b32 a4, v2
	v_accvgpr_write_b32 a3, v1
	;; [unrolled: 1-line block ×3, first 2 shown]
	v_add_f64 v[106:107], v[106:107], v[198:199]
	v_mul_f64 v[198:199], v[126:127], s[10:11]
	v_accvgpr_read_b32 v2, a18
	v_mul_f64 v[240:241], v[202:203], s[10:11]
	v_mul_f64 v[216:217], v[202:203], s[18:19]
	;; [unrolled: 1-line block ×4, first 2 shown]
	v_add_f64 v[182:183], v[198:199], -v[182:183]
	v_mul_f64 v[198:199], v[108:109], s[16:17]
	v_accvgpr_write_b32 a13, v11
	v_accvgpr_read_b32 v0, a32
	v_accvgpr_read_b32 v3, a19
	v_add_f64 v[196:197], v[196:197], -v[230:231]
	v_mul_f64 v[250:251], v[242:243], s[18:19]
	v_mov_b64_e32 v[4:5], v[170:171]
	v_mov_b64_e32 v[170:171], v[164:165]
	;; [unrolled: 1-line block ×4, first 2 shown]
	v_mul_f64 v[212:213], v[242:243], s[14:15]
	v_mul_f64 v[204:205], v[242:243], s[6:7]
	;; [unrolled: 1-line block ×4, first 2 shown]
	v_add_f64 v[114:115], v[198:199], -v[114:115]
	v_mul_f64 v[198:199], v[108:109], s[12:13]
	v_accvgpr_write_b32 a12, v10
	v_accvgpr_write_b32 a11, v9
	;; [unrolled: 1-line block ×3, first 2 shown]
	v_mov_b64_e32 v[8:9], v[218:219]
	v_mul_f64 v[218:219], v[108:109], s[10:11]
	v_accvgpr_read_b32 v1, a33
	v_add_f64 v[108:109], v[202:203], -v[2:3]
	v_add_f64 v[196:197], v[72:73], v[196:197]
	v_accvgpr_read_b32 v10, a56
	v_mul_f64 v[224:225], v[110:111], s[14:15]
	v_add_f64 v[242:243], v[242:243], -v[246:247]
	v_mul_f64 v[246:247], v[110:111], s[12:13]
	v_mul_f64 v[110:111], v[110:111], s[10:11]
	v_add_f64 v[130:131], v[130:131], -v[0:1]
	v_add_f64 v[196:197], v[108:109], v[196:197]
	v_accvgpr_read_b32 v11, a57
	v_add_f64 v[108:109], v[142:143], v[106:107]
	v_add_f64 v[106:107], v[130:131], v[196:197]
	;; [unrolled: 1-line block ×3, first 2 shown]
	v_accvgpr_read_b32 v10, a44
	v_mul_f64 v[228:229], v[244:245], s[18:19]
	v_mov_b64_e32 v[236:237], v[214:215]
	v_mul_f64 v[214:215], v[244:245], s[14:15]
	v_mul_f64 v[244:245], v[244:245], s[6:7]
	;; [unrolled: 1-line block ×5, first 2 shown]
	v_add_f64 v[106:107], v[242:243], v[106:107]
	v_accvgpr_read_b32 v11, a45
	v_add_f64 v[106:107], v[114:115], v[106:107]
	v_add_f64 v[114:115], v[132:133], v[128:129]
	v_add_f64 v[128:129], v[10:11], v[244:245]
	v_accvgpr_read_b32 v10, a30
	v_accvgpr_read_b32 v11, a31
	v_mov_b64_e32 v[2:3], v[226:227]
	v_add_f64 v[112:113], v[10:11], v[112:113]
	v_accvgpr_read_b32 v10, a16
	v_accvgpr_read_b32 v11, a17
	v_add_f64 v[142:143], v[2:3], v[194:195]
	v_add_f64 v[130:131], v[10:11], v[234:235]
	;; [unrolled: 1-line block ×6, first 2 shown]
	v_accvgpr_read_b32 v2, a54
	v_add_f64 v[110:111], v[110:111], v[112:113]
	v_accvgpr_read_b32 v3, a55
	v_add_f64 v[112:113], v[114:115], v[110:111]
	v_add_f64 v[114:115], v[218:219], -v[2:3]
	v_accvgpr_read_b32 v2, a42
	v_mul_f64 v[220:221], v[126:127], s[16:17]
	v_mul_f64 v[226:227], v[126:127], s[6:7]
	;; [unrolled: 1-line block ×3, first 2 shown]
	v_accvgpr_read_b32 v3, a43
	v_add_f64 v[110:111], v[126:127], -v[190:191]
	v_add_f64 v[126:127], v[204:205], -v[2:3]
	v_accvgpr_read_b32 v2, a28
	v_add_f64 v[142:143], v[192:193], -v[180:181]
	v_accvgpr_read_b32 v3, a29
	v_add_f64 v[130:131], v[168:169], -v[158:159]
	v_add_f64 v[142:143], v[72:73], v[142:143]
	v_add_f64 v[128:129], v[160:161], -v[2:3]
	v_add_f64 v[130:131], v[130:131], v[142:143]
	v_add_f64 v[128:129], v[128:129], v[130:131]
	;; [unrolled: 1-line block ×3, first 2 shown]
	v_accvgpr_read_b32 v2, a64
	v_add_f64 v[114:115], v[114:115], v[126:127]
	v_accvgpr_read_b32 v3, a65
	v_add_f64 v[110:111], v[110:111], v[114:115]
	v_add_f64 v[114:115], v[2:3], v[230:231]
	v_accvgpr_read_b32 v2, a52
	v_accvgpr_read_b32 v3, a53
	v_add_f64 v[126:127], v[2:3], v[246:247]
	v_accvgpr_read_b32 v2, a40
	v_accvgpr_read_b32 v3, a41
	v_add_f64 v[128:129], v[2:3], v[214:215]
	v_accvgpr_read_b32 v2, a26
	v_add_f64 v[142:143], v[178:179], v[144:145]
	;; [unrolled: 2-line block ×3, first 2 shown]
	v_add_f64 v[142:143], v[74:75], v[142:143]
	v_add_f64 v[130:131], v[2:3], v[166:167]
	;; [unrolled: 1-line block ×5, first 2 shown]
	v_accvgpr_read_b32 v2, a62
	v_add_f64 v[126:127], v[126:127], v[128:129]
	v_accvgpr_read_b32 v3, a63
	v_add_f64 v[128:129], v[114:115], v[126:127]
	v_add_f64 v[114:115], v[226:227], -v[2:3]
	v_accvgpr_read_b32 v2, a50
	v_accvgpr_read_b32 v3, a51
	v_add_f64 v[126:127], v[198:199], -v[2:3]
	v_accvgpr_read_b32 v2, a38
	v_accvgpr_read_b32 v3, a39
	v_add_f64 v[130:131], v[212:213], -v[2:3]
	v_accvgpr_read_b32 v2, a24
	v_add_f64 v[158:159], v[188:189], -v[174:175]
	;; [unrolled: 2-line block ×3, first 2 shown]
	v_add_f64 v[158:159], v[72:73], v[158:159]
	v_add_f64 v[132:133], v[176:177], -v[2:3]
	v_add_f64 v[142:143], v[142:143], v[158:159]
	v_add_f64 v[132:133], v[132:133], v[142:143]
	;; [unrolled: 1-line block ×3, first 2 shown]
	v_accvgpr_read_b32 v2, a60
	v_add_f64 v[126:127], v[126:127], v[130:131]
	v_accvgpr_read_b32 v3, a61
	v_add_f64 v[126:127], v[114:115], v[126:127]
	v_add_f64 v[114:115], v[2:3], v[202:203]
	v_accvgpr_read_b32 v2, a48
	v_accvgpr_read_b32 v3, a49
	v_add_f64 v[130:131], v[2:3], v[224:225]
	v_accvgpr_read_b32 v2, a36
	v_accvgpr_read_b32 v3, a37
	;; [unrolled: 3-line block ×4, first 2 shown]
	v_add_f64 v[160:161], v[172:173], v[2:3]
	v_add_f64 v[158:159], v[6:7], v[206:207]
	v_add_f64 v[160:161], v[74:75], v[160:161]
	v_add_f64 v[158:159], v[158:159], v[160:161]
	v_add_f64 v[142:143], v[142:143], v[158:159]
	v_add_f64 v[132:133], v[132:133], v[142:143]
	v_accvgpr_read_b32 v2, a58
	v_add_f64 v[130:131], v[130:131], v[132:133]
	v_accvgpr_read_b32 v3, a59
	v_add_f64 v[132:133], v[114:115], v[130:131]
	v_add_f64 v[114:115], v[220:221], -v[2:3]
	v_accvgpr_read_b32 v2, a46
	v_accvgpr_read_b32 v3, a47
	v_add_f64 v[130:131], v[222:223], -v[2:3]
	v_accvgpr_read_b32 v2, a34
	v_accvgpr_read_b32 v3, a35
	;; [unrolled: 3-line block ×3, first 2 shown]
	v_accvgpr_read_b32 v0, a14
	v_add_f64 v[158:159], v[208:209], -v[2:3]
	v_accvgpr_read_b32 v2, a72
	v_accvgpr_read_b32 v1, a15
	;; [unrolled: 1-line block ×3, first 2 shown]
	v_add_f64 v[144:145], v[2:3], -v[0:1]
	v_accvgpr_read_b32 v0, a66
	v_accvgpr_read_b32 v1, a67
	v_add_f64 v[144:145], v[72:73], v[144:145]
	v_add_f64 v[72:73], v[72:73], v[0:1]
	v_accvgpr_read_b32 v0, a68
	v_accvgpr_read_b32 v1, a69
	v_add_f64 v[74:75], v[74:75], v[116:117]
	v_add_f64 v[72:73], v[72:73], v[0:1]
	v_accvgpr_read_b32 v0, a70
	v_add_f64 v[74:75], v[74:75], v[118:119]
	v_accvgpr_read_b32 v1, a71
	v_add_f64 v[74:75], v[74:75], v[120:121]
	v_add_f64 v[72:73], v[72:73], v[0:1]
	;; [unrolled: 1-line block ×10, first 2 shown]
	v_add_f64 v[160:161], v[240:241], -v[232:233]
	v_add_f64 v[74:75], v[74:75], v[140:141]
	v_add_f64 v[72:73], v[72:73], v[164:165]
	;; [unrolled: 1-line block ×11, first 2 shown]
	v_accvgpr_read_b32 v231, a1
	v_mov_b32_e32 v198, v105
	v_add_f64 v[130:131], v[130:131], v[142:143]
	v_add_f64 v[74:75], v[74:75], v[156:157]
	v_accvgpr_read_b32 v255, a9
	v_accvgpr_read_b32 v0, a2
	v_add_f64 v[72:73], v[72:73], v[8:9]
	v_accvgpr_read_b32 v8, a10
	v_accvgpr_read_b32 v230, a0
	;; [unrolled: 3-line block ×3, first 2 shown]
	v_accvgpr_read_b32 v252, a6
	v_accvgpr_read_b32 v1, a3
	;; [unrolled: 1-line block ×7, first 2 shown]
	ds_write_b128 v186, v[72:75]
	v_lshl_add_u32 v72, v125, 4, v198
	v_add_f64 v[106:107], v[182:183], v[106:107]
	ds_write_b128 v72, v[130:133] offset:96
	ds_write_b128 v72, v[126:129] offset:192
	;; [unrolled: 1-line block ×12, first 2 shown]
.LBB0_5:
	s_or_b64 exec, exec, s[20:21]
	s_add_u32 s4, s4, 0x4e0
	s_waitcnt lgkmcnt(0)
	s_barrier
	global_load_dwordx4 v[72:75], v[230:231], off offset:1248
	s_addc_u32 s5, s5, 0
	global_load_dwordx4 v[106:109], v104, s[4:5] offset:208
	global_load_dwordx4 v[110:113], v104, s[4:5] offset:416
	;; [unrolled: 1-line block ×5, first 2 shown]
	ds_read_b128 v[130:133], v186
	ds_read_b128 v[134:137], v186 offset:208
	ds_read_b128 v[138:141], v186 offset:416
	;; [unrolled: 1-line block ×5, first 2 shown]
	s_mov_b32 s6, 0xe8584caa
	s_mov_b32 s7, 0xbfebb67a
	;; [unrolled: 1-line block ×4, first 2 shown]
	s_waitcnt vmcnt(5) lgkmcnt(5)
	v_mul_f64 v[104:105], v[132:133], v[74:75]
	v_mul_f64 v[156:157], v[130:131], v[74:75]
	v_fma_f64 v[154:155], v[130:131], v[72:73], -v[104:105]
	v_fmac_f64_e32 v[156:157], v[132:133], v[72:73]
	s_waitcnt vmcnt(4) lgkmcnt(4)
	v_mul_f64 v[72:73], v[136:137], v[108:109]
	v_mul_f64 v[74:75], v[134:135], v[108:109]
	s_waitcnt vmcnt(3) lgkmcnt(3)
	v_mul_f64 v[104:105], v[140:141], v[112:113]
	v_mul_f64 v[108:109], v[138:139], v[112:113]
	;; [unrolled: 3-line block ×5, first 2 shown]
	v_fma_f64 v[72:73], v[134:135], v[106:107], -v[72:73]
	v_fmac_f64_e32 v[74:75], v[136:137], v[106:107]
	v_fma_f64 v[106:107], v[138:139], v[110:111], -v[104:105]
	v_fmac_f64_e32 v[108:109], v[140:141], v[110:111]
	;; [unrolled: 2-line block ×4, first 2 shown]
	v_fmac_f64_e32 v[120:121], v[152:153], v[126:127]
	ds_write_b128 v186, v[154:157]
	v_fma_f64 v[118:119], v[150:151], v[126:127], -v[132:133]
	ds_write_b128 v186, v[72:75] offset:208
	ds_write_b128 v186, v[106:109] offset:416
	;; [unrolled: 1-line block ×5, first 2 shown]
	s_waitcnt lgkmcnt(0)
	s_barrier
	ds_read_b128 v[72:75], v186 offset:416
	ds_read_b128 v[120:123], v186
	ds_read_b128 v[104:107], v186 offset:832
	ds_read_b128 v[110:113], v186 offset:208
	ds_read_b128 v[114:117], v186 offset:624
	ds_read_b128 v[126:129], v186 offset:1040
	s_waitcnt lgkmcnt(4)
	v_add_f64 v[132:133], v[122:123], v[74:75]
	s_waitcnt lgkmcnt(3)
	v_add_f64 v[118:119], v[72:73], v[104:105]
	v_add_f64 v[108:109], v[120:121], v[72:73]
	s_waitcnt lgkmcnt(1)
	v_add_f64 v[140:141], v[112:113], v[116:117]
	s_waitcnt lgkmcnt(0)
	v_add_f64 v[138:139], v[116:117], -v[128:129]
	v_add_f64 v[116:117], v[116:117], v[128:129]
	v_add_f64 v[134:135], v[110:111], v[114:115]
	;; [unrolled: 1-line block ×3, first 2 shown]
	v_add_f64 v[114:115], v[114:115], -v[126:127]
	v_fmac_f64_e32 v[112:113], -0.5, v[116:117]
	v_add_f64 v[130:131], v[74:75], -v[106:107]
	v_add_f64 v[74:75], v[74:75], v[106:107]
	v_fmac_f64_e32 v[120:121], -0.5, v[118:119]
	v_add_f64 v[118:119], v[132:133], v[106:107]
	v_fmac_f64_e32 v[110:111], -0.5, v[136:137]
	v_fma_f64 v[132:133], s[4:5], v[114:115], v[112:113]
	v_fmac_f64_e32 v[112:113], s[6:7], v[114:115]
	v_add_f64 v[72:73], v[72:73], -v[104:105]
	v_fmac_f64_e32 v[122:123], -0.5, v[74:75]
	v_add_f64 v[126:127], v[134:135], v[126:127]
	v_fma_f64 v[106:107], s[6:7], v[138:139], v[110:111]
	v_fmac_f64_e32 v[110:111], s[4:5], v[138:139]
	v_mul_f64 v[114:115], v[132:133], s[6:7]
	v_mul_f64 v[134:135], v[112:113], s[6:7]
	v_mul_f64 v[132:133], v[132:133], 0.5
	v_mul_f64 v[136:137], v[112:113], -0.5
	v_add_f64 v[142:143], v[108:109], v[104:105]
	v_add_f64 v[128:129], v[140:141], v[128:129]
	v_fma_f64 v[116:117], s[6:7], v[130:131], v[120:121]
	v_fmac_f64_e32 v[120:121], s[4:5], v[130:131]
	v_fma_f64 v[130:131], s[4:5], v[72:73], v[122:123]
	v_fmac_f64_e32 v[122:123], s[6:7], v[72:73]
	v_fmac_f64_e32 v[114:115], 0.5, v[106:107]
	v_fmac_f64_e32 v[134:135], -0.5, v[110:111]
	v_fmac_f64_e32 v[132:133], s[4:5], v[106:107]
	v_fmac_f64_e32 v[136:137], s[4:5], v[110:111]
	v_add_f64 v[72:73], v[142:143], v[126:127]
	v_add_f64 v[104:105], v[116:117], v[114:115]
	;; [unrolled: 1-line block ×6, first 2 shown]
	v_add_f64 v[112:113], v[142:143], -v[126:127]
	v_add_f64 v[116:117], v[116:117], -v[114:115]
	;; [unrolled: 1-line block ×6, first 2 shown]
	s_barrier
	ds_write_b128 v187, v[72:75]
	ds_write_b128 v187, v[104:107] offset:16
	ds_write_b128 v187, v[108:111] offset:32
	ds_write_b128 v187, v[112:115] offset:48
	ds_write_b128 v187, v[116:119] offset:64
	ds_write_b128 v187, v[120:123] offset:80
	s_waitcnt lgkmcnt(0)
	s_barrier
	s_and_saveexec_b64 s[4:5], vcc
	s_cbranch_execz .LBB0_7
; %bb.6:
	ds_read_b128 v[72:75], v186
	ds_read_b128 v[104:107], v186 offset:96
	ds_read_b128 v[108:111], v186 offset:192
	;; [unrolled: 1-line block ×12, first 2 shown]
.LBB0_7:
	s_or_b64 exec, exec, s[4:5]
	s_and_saveexec_b64 s[4:5], vcc
	s_cbranch_execz .LBB0_9
; %bb.8:
	s_waitcnt lgkmcnt(6)
	v_mul_f64 v[126:127], v[54:55], v[98:99]
	v_mul_f64 v[54:55], v[54:55], v[96:97]
	v_fmac_f64_e32 v[126:127], v[52:53], v[96:97]
	s_waitcnt lgkmcnt(5)
	v_mul_f64 v[128:129], v[46:47], v[102:103]
	v_fma_f64 v[96:97], v[52:53], v[98:99], -v[54:55]
	v_mul_f64 v[52:53], v[66:67], v[122:123]
	v_mul_f64 v[66:67], v[66:67], v[120:121]
	v_fmac_f64_e32 v[128:129], v[44:45], v[100:101]
	v_mul_f64 v[46:47], v[46:47], v[100:101]
	s_waitcnt lgkmcnt(4)
	v_mul_f64 v[54:55], v[42:43], v[94:95]
	v_fma_f64 v[100:101], v[64:65], v[122:123], -v[66:67]
	v_mul_f64 v[42:43], v[42:43], v[92:93]
	v_mul_f64 v[66:67], v[38:39], v[118:119]
	;; [unrolled: 1-line block ×3, first 2 shown]
	v_fmac_f64_e32 v[52:53], v[64:65], v[120:121]
	v_fmac_f64_e32 v[54:55], v[40:41], v[92:93]
	v_fma_f64 v[92:93], v[40:41], v[94:95], -v[42:43]
	v_fmac_f64_e32 v[66:67], v[36:37], v[116:117]
	s_waitcnt lgkmcnt(3)
	v_mul_f64 v[64:65], v[70:71], v[90:91]
	v_fma_f64 v[94:95], v[36:37], v[118:119], -v[38:39]
	v_mul_f64 v[36:37], v[70:71], v[88:89]
	v_fmac_f64_e32 v[64:65], v[68:69], v[88:89]
	v_fma_f64 v[70:71], v[68:69], v[90:91], -v[36:37]
	v_mul_f64 v[88:89], v[34:35], v[114:115]
	s_waitcnt lgkmcnt(2)
	v_mul_f64 v[68:69], v[62:63], v[86:87]
	v_mul_f64 v[34:35], v[34:35], v[112:113]
	v_fmac_f64_e32 v[88:89], v[32:33], v[112:113]
	v_fmac_f64_e32 v[68:69], v[60:61], v[84:85]
	v_fma_f64 v[90:91], v[32:33], v[114:115], -v[34:35]
	v_mul_f64 v[32:33], v[62:63], v[84:85]
	v_mul_f64 v[84:85], v[30:31], v[110:111]
	v_mul_f64 v[30:31], v[30:31], v[108:109]
	v_fma_f64 v[62:63], v[60:61], v[86:87], -v[32:33]
	v_fmac_f64_e32 v[84:85], v[28:29], v[108:109]
	s_waitcnt lgkmcnt(1)
	v_mul_f64 v[60:61], v[58:59], v[82:83]
	v_fma_f64 v[86:87], v[28:29], v[110:111], -v[30:31]
	v_mul_f64 v[28:29], v[58:59], v[80:81]
	v_fmac_f64_e32 v[60:61], v[56:57], v[80:81]
	v_fma_f64 v[58:59], v[56:57], v[82:83], -v[28:29]
	v_mul_f64 v[80:81], v[26:27], v[106:107]
	s_waitcnt lgkmcnt(0)
	v_mul_f64 v[56:57], v[50:51], v[78:79]
	v_mul_f64 v[26:27], v[26:27], v[104:105]
	v_fmac_f64_e32 v[80:81], v[24:25], v[104:105]
	v_fmac_f64_e32 v[56:57], v[48:49], v[76:77]
	s_mov_b32 s28, 0x4bc48dbf
	v_fma_f64 v[82:83], v[24:25], v[106:107], -v[26:27]
	v_mul_f64 v[24:25], v[50:51], v[76:77]
	v_add_f64 v[140:141], v[80:81], -v[56:57]
	s_mov_b32 s29, 0xbfcea1e5
	v_fma_f64 v[76:77], v[48:49], v[78:79], -v[24:25]
	s_mov_b32 s26, 0x93053d00
	s_mov_b32 s20, 0x24c2f84
	v_add_f64 v[114:115], v[84:85], -v[60:61]
	s_mov_b32 s25, 0x3fddbe06
	s_mov_b32 s24, 0x4267c47c
	;; [unrolled: 1-line block ×3, first 2 shown]
	v_mul_f64 v[30:31], v[140:141], s[28:29]
	v_add_f64 v[78:79], v[82:83], v[76:77]
	s_mov_b32 s27, 0xbfef11f4
	s_mov_b32 s34, 0x42a4c3d2
	v_add_f64 v[118:119], v[88:89], -v[68:69]
	s_mov_b32 s21, 0xbfe5384d
	s_mov_b32 s16, 0xd0032e0c
	v_mul_f64 v[34:35], v[114:115], s[24:25]
	v_add_f64 v[108:109], v[86:87], v[58:59]
	s_mov_b32 s19, 0x3fec55a7
	v_fma_f64 v[24:25], s[26:27], v[78:79], v[30:31]
	s_mov_b32 s14, 0x2ef20147
	v_add_f64 v[122:123], v[66:67], -v[64:65]
	s_mov_b32 s35, 0x3fea55e2
	s_mov_b32 s12, 0x1ea71119
	v_mul_f64 v[38:39], v[118:119], s[20:21]
	v_add_f64 v[112:113], v[90:91], v[62:63]
	s_mov_b32 s17, 0xbfe7f3cc
	v_fma_f64 v[28:29], s[18:19], v[108:109], v[34:35]
	v_add_f64 v[24:25], v[74:75], v[24:25]
	v_add_f64 v[152:153], v[82:83], -v[76:77]
	s_mov_b32 s22, 0x66966769
	v_add_f64 v[132:133], v[52:53], -v[54:55]
	s_mov_b32 s15, 0xbfedeba7
	s_mov_b32 s10, 0xb2365da1
	v_mul_f64 v[42:43], v[122:123], s[34:35]
	v_add_f64 v[116:117], v[94:95], v[70:71]
	s_mov_b32 s13, 0x3fe22d96
	v_fma_f64 v[32:33], s[16:17], v[112:113], v[38:39]
	v_add_f64 v[24:25], v[28:29], v[24:25]
	v_add_f64 v[150:151], v[86:87], -v[58:59]
	v_add_f64 v[138:139], v[80:81], v[56:57]
	v_mul_f64 v[160:161], v[152:153], s[28:29]
	v_add_f64 v[130:131], v[126:127], -v[128:129]
	s_mov_b32 s23, 0x3fefc445
	v_fma_f64 v[98:99], v[44:45], v[102:103], -v[46:47]
	s_mov_b32 s6, 0xebaa3ed8
	v_mul_f64 v[46:47], v[132:133], s[14:15]
	v_add_f64 v[120:121], v[100:101], v[92:93]
	s_mov_b32 s11, 0xbfd6b1d8
	v_fma_f64 v[36:37], s[12:13], v[116:117], v[42:43]
	v_add_f64 v[24:25], v[32:33], v[24:25]
	v_add_f64 v[148:149], v[90:91], -v[62:63]
	v_add_f64 v[136:137], v[84:85], v[60:61]
	v_mul_f64 v[156:157], v[150:151], s[24:25]
	v_fma_f64 v[162:163], v[138:139], s[26:27], -v[160:161]
	v_mul_f64 v[154:155], v[130:131], s[22:23]
	v_add_f64 v[102:103], v[96:97], v[98:99]
	s_mov_b32 s7, 0x3fbedb7d
	v_fma_f64 v[40:41], s[10:11], v[120:121], v[46:47]
	v_add_f64 v[24:25], v[36:37], v[24:25]
	v_add_f64 v[146:147], v[94:95], -v[70:71]
	v_add_f64 v[134:135], v[88:89], v[68:69]
	v_mul_f64 v[48:49], v[148:149], s[20:21]
	v_fma_f64 v[158:159], v[136:137], s[18:19], -v[156:157]
	v_add_f64 v[162:163], v[72:73], v[162:163]
	v_fma_f64 v[44:45], s[6:7], v[102:103], v[154:155]
	v_add_f64 v[24:25], v[40:41], v[24:25]
	v_add_f64 v[144:145], v[100:101], -v[92:93]
	v_add_f64 v[110:111], v[66:67], v[64:65]
	v_mul_f64 v[40:41], v[146:147], s[34:35]
	v_fma_f64 v[50:51], v[134:135], s[16:17], -v[48:49]
	v_add_f64 v[158:159], v[158:159], v[162:163]
	v_add_f64 v[26:27], v[44:45], v[24:25]
	v_add_f64 v[142:143], v[96:97], -v[98:99]
	v_add_f64 v[106:107], v[52:53], v[54:55]
	v_mul_f64 v[32:33], v[144:145], s[14:15]
	v_fma_f64 v[44:45], v[110:111], s[12:13], -v[40:41]
	v_add_f64 v[50:51], v[50:51], v[158:159]
	v_fma_f64 v[30:31], v[78:79], s[26:27], -v[30:31]
	v_add_f64 v[104:105], v[126:127], v[128:129]
	v_mul_f64 v[28:29], v[142:143], s[22:23]
	v_fma_f64 v[36:37], v[106:107], s[10:11], -v[32:33]
	v_add_f64 v[44:45], v[44:45], v[50:51]
	v_fma_f64 v[34:35], v[108:109], s[18:19], -v[34:35]
	v_add_f64 v[30:31], v[74:75], v[30:31]
	v_fmac_f64_e32 v[160:161], s[26:27], v[138:139]
	v_fma_f64 v[24:25], v[104:105], s[6:7], -v[28:29]
	v_add_f64 v[36:37], v[36:37], v[44:45]
	v_fma_f64 v[38:39], v[112:113], s[16:17], -v[38:39]
	v_add_f64 v[30:31], v[34:35], v[30:31]
	v_fmac_f64_e32 v[156:157], s[18:19], v[136:137]
	v_add_f64 v[34:35], v[72:73], v[160:161]
	v_add_f64 v[24:25], v[24:25], v[36:37]
	v_fma_f64 v[36:37], v[102:103], s[6:7], -v[154:155]
	v_fma_f64 v[42:43], v[116:117], s[12:13], -v[42:43]
	v_add_f64 v[30:31], v[38:39], v[30:31]
	v_fmac_f64_e32 v[48:49], s[16:17], v[134:135]
	v_add_f64 v[34:35], v[156:157], v[34:35]
	v_mul_f64 v[154:155], v[140:141], s[20:21]
	v_fma_f64 v[44:45], v[120:121], s[10:11], -v[46:47]
	v_add_f64 v[30:31], v[42:43], v[30:31]
	v_add_f64 v[34:35], v[48:49], v[34:35]
	s_mov_b32 s31, 0xbfea55e2
	s_mov_b32 s30, s34
	v_mul_f64 v[48:49], v[114:115], s[22:23]
	v_fma_f64 v[156:157], s[16:17], v[78:79], v[154:155]
	v_mul_f64 v[168:169], v[152:153], s[20:21]
	v_add_f64 v[30:31], v[44:45], v[30:31]
	v_fmac_f64_e32 v[40:41], s[12:13], v[110:111]
	s_mov_b32 s41, 0x3fcea1e5
	s_mov_b32 s40, s28
	v_mul_f64 v[44:45], v[118:119], s[30:31]
	v_fma_f64 v[50:51], s[6:7], v[108:109], v[48:49]
	v_add_f64 v[156:157], v[74:75], v[156:157]
	v_mul_f64 v[164:165], v[150:151], s[22:23]
	v_fma_f64 v[170:171], v[138:139], s[16:17], -v[168:169]
	v_add_f64 v[34:35], v[40:41], v[34:35]
	v_mul_f64 v[40:41], v[122:123], s[40:41]
	v_fma_f64 v[46:47], s[12:13], v[112:113], v[44:45]
	v_add_f64 v[50:51], v[50:51], v[156:157]
	v_mul_f64 v[160:161], v[148:149], s[30:31]
	v_fma_f64 v[166:167], v[136:137], s[6:7], -v[164:165]
	v_add_f64 v[170:171], v[72:73], v[170:171]
	v_fmac_f64_e32 v[32:33], s[10:11], v[106:107]
	v_mul_f64 v[38:39], v[132:133], s[24:25]
	v_fma_f64 v[42:43], s[26:27], v[116:117], v[40:41]
	v_add_f64 v[46:47], v[46:47], v[50:51]
	v_mul_f64 v[156:157], v[146:147], s[40:41]
	v_fma_f64 v[162:163], v[134:135], s[12:13], -v[160:161]
	v_add_f64 v[166:167], v[166:167], v[170:171]
	v_add_f64 v[30:31], v[36:37], v[30:31]
	v_fmac_f64_e32 v[28:29], s[6:7], v[104:105]
	v_add_f64 v[32:33], v[32:33], v[34:35]
	v_mul_f64 v[36:37], v[130:131], s[14:15]
	v_fma_f64 v[34:35], s[18:19], v[120:121], v[38:39]
	v_add_f64 v[42:43], v[42:43], v[46:47]
	v_mul_f64 v[46:47], v[144:145], s[24:25]
	v_fma_f64 v[158:159], v[110:111], s[26:27], -v[156:157]
	v_add_f64 v[162:163], v[162:163], v[166:167]
	v_add_f64 v[28:29], v[28:29], v[32:33]
	v_fma_f64 v[32:33], s[10:11], v[102:103], v[36:37]
	v_add_f64 v[34:35], v[34:35], v[42:43]
	v_mul_f64 v[42:43], v[142:143], s[14:15]
	v_fma_f64 v[50:51], v[106:107], s[18:19], -v[46:47]
	v_add_f64 v[158:159], v[158:159], v[162:163]
	v_add_f64 v[34:35], v[32:33], v[34:35]
	v_fma_f64 v[32:33], v[104:105], s[10:11], -v[42:43]
	v_add_f64 v[50:51], v[50:51], v[158:159]
	v_add_f64 v[32:33], v[32:33], v[50:51]
	v_fma_f64 v[50:51], v[78:79], s[16:17], -v[154:155]
	v_fma_f64 v[48:49], v[108:109], s[6:7], -v[48:49]
	v_add_f64 v[50:51], v[74:75], v[50:51]
	v_fma_f64 v[44:45], v[112:113], s[12:13], -v[44:45]
	v_add_f64 v[48:49], v[48:49], v[50:51]
	;; [unrolled: 2-line block ×5, first 2 shown]
	v_fmac_f64_e32 v[168:169], s[16:17], v[138:139]
	v_add_f64 v[38:39], v[36:37], v[38:39]
	v_fmac_f64_e32 v[164:165], s[6:7], v[136:137]
	v_add_f64 v[36:37], v[72:73], v[168:169]
	s_mov_b32 s39, 0x3fe5384d
	s_mov_b32 s38, s20
	v_mul_f64 v[162:163], v[140:141], s[14:15]
	v_fmac_f64_e32 v[160:161], s[12:13], v[134:135]
	v_add_f64 v[36:37], v[164:165], v[36:37]
	v_mul_f64 v[158:159], v[114:115], s[38:39]
	v_fma_f64 v[164:165], s[10:11], v[78:79], v[162:163]
	v_mul_f64 v[176:177], v[152:153], s[14:15]
	v_fmac_f64_e32 v[156:157], s[26:27], v[110:111]
	v_add_f64 v[36:37], v[160:161], v[36:37]
	s_mov_b32 s37, 0xbfefc445
	s_mov_b32 s36, s22
	v_mul_f64 v[154:155], v[118:119], s[24:25]
	v_fma_f64 v[160:161], s[16:17], v[108:109], v[158:159]
	v_add_f64 v[164:165], v[74:75], v[164:165]
	v_mul_f64 v[172:173], v[150:151], s[38:39]
	v_fma_f64 v[178:179], v[138:139], s[10:11], -v[176:177]
	v_fmac_f64_e32 v[46:47], s[18:19], v[106:107]
	v_add_f64 v[36:37], v[156:157], v[36:37]
	v_mul_f64 v[48:49], v[122:123], s[36:37]
	v_fma_f64 v[156:157], s[18:19], v[112:113], v[154:155]
	v_add_f64 v[160:161], v[160:161], v[164:165]
	v_mul_f64 v[168:169], v[148:149], s[24:25]
	v_fma_f64 v[174:175], v[136:137], s[16:17], -v[172:173]
	v_add_f64 v[178:179], v[72:73], v[178:179]
	v_fmac_f64_e32 v[42:43], s[10:11], v[104:105]
	v_add_f64 v[36:37], v[46:47], v[36:37]
	v_mul_f64 v[46:47], v[132:133], s[40:41]
	v_fma_f64 v[50:51], s[6:7], v[116:117], v[48:49]
	v_add_f64 v[156:157], v[156:157], v[160:161]
	v_mul_f64 v[164:165], v[146:147], s[36:37]
	v_fma_f64 v[170:171], v[134:135], s[18:19], -v[168:169]
	v_add_f64 v[174:175], v[174:175], v[178:179]
	v_add_f64 v[36:37], v[42:43], v[36:37]
	v_mul_f64 v[44:45], v[130:131], s[34:35]
	v_fma_f64 v[42:43], s[26:27], v[120:121], v[46:47]
	v_add_f64 v[50:51], v[50:51], v[156:157]
	v_mul_f64 v[156:157], v[144:145], s[40:41]
	v_fma_f64 v[166:167], v[110:111], s[6:7], -v[164:165]
	v_add_f64 v[170:171], v[170:171], v[174:175]
	v_fma_f64 v[40:41], s[12:13], v[102:103], v[44:45]
	v_add_f64 v[42:43], v[42:43], v[50:51]
	v_mul_f64 v[50:51], v[142:143], s[34:35]
	v_fma_f64 v[160:161], v[106:107], s[26:27], -v[156:157]
	v_add_f64 v[166:167], v[166:167], v[170:171]
	v_add_f64 v[42:43], v[40:41], v[42:43]
	v_fma_f64 v[40:41], v[104:105], s[12:13], -v[50:51]
	v_add_f64 v[160:161], v[160:161], v[166:167]
	v_add_f64 v[40:41], v[40:41], v[160:161]
	v_fma_f64 v[160:161], v[78:79], s[10:11], -v[162:163]
	v_fma_f64 v[158:159], v[108:109], s[16:17], -v[158:159]
	v_add_f64 v[160:161], v[74:75], v[160:161]
	v_fma_f64 v[154:155], v[112:113], s[18:19], -v[154:155]
	v_add_f64 v[158:159], v[158:159], v[160:161]
	;; [unrolled: 2-line block ×5, first 2 shown]
	v_fmac_f64_e32 v[176:177], s[10:11], v[138:139]
	v_add_f64 v[46:47], v[44:45], v[46:47]
	v_fmac_f64_e32 v[172:173], s[16:17], v[136:137]
	v_add_f64 v[44:45], v[72:73], v[176:177]
	v_mul_f64 v[170:171], v[140:141], s[36:37]
	v_fmac_f64_e32 v[168:169], s[18:19], v[134:135]
	v_add_f64 v[44:45], v[172:173], v[44:45]
	s_mov_b32 s35, 0x3fedeba7
	s_mov_b32 s34, s14
	v_mul_f64 v[166:167], v[114:115], s[28:29]
	v_fma_f64 v[172:173], s[6:7], v[78:79], v[170:171]
	v_mul_f64 v[184:185], v[152:153], s[36:37]
	v_fmac_f64_e32 v[164:165], s[6:7], v[110:111]
	v_add_f64 v[44:45], v[168:169], v[44:45]
	v_mul_f64 v[162:163], v[118:119], s[34:35]
	v_fma_f64 v[168:169], s[26:27], v[108:109], v[166:167]
	v_add_f64 v[172:173], v[74:75], v[172:173]
	v_mul_f64 v[180:181], v[150:151], s[28:29]
	v_fma_f64 v[188:189], v[138:139], s[6:7], -v[184:185]
	v_fmac_f64_e32 v[156:157], s[26:27], v[106:107]
	v_add_f64 v[44:45], v[164:165], v[44:45]
	v_mul_f64 v[158:159], v[122:123], s[24:25]
	v_fma_f64 v[164:165], s[10:11], v[112:113], v[162:163]
	v_add_f64 v[168:169], v[168:169], v[172:173]
	v_mul_f64 v[176:177], v[148:149], s[34:35]
	v_fma_f64 v[182:183], v[136:137], s[26:27], -v[180:181]
	v_add_f64 v[188:189], v[72:73], v[188:189]
	v_fmac_f64_e32 v[50:51], s[12:13], v[104:105]
	v_add_f64 v[44:45], v[156:157], v[44:45]
	v_mul_f64 v[156:157], v[132:133], s[30:31]
	v_fma_f64 v[160:161], s[18:19], v[116:117], v[158:159]
	v_add_f64 v[164:165], v[164:165], v[168:169]
	v_mul_f64 v[172:173], v[146:147], s[24:25]
	v_fma_f64 v[178:179], v[134:135], s[10:11], -v[176:177]
	v_add_f64 v[182:183], v[182:183], v[188:189]
	v_add_f64 v[44:45], v[50:51], v[44:45]
	v_mul_f64 v[154:155], v[130:131], s[20:21]
	v_fma_f64 v[50:51], s[12:13], v[120:121], v[156:157]
	v_add_f64 v[160:161], v[160:161], v[164:165]
	v_mul_f64 v[164:165], v[144:145], s[30:31]
	v_fma_f64 v[174:175], v[110:111], s[18:19], -v[172:173]
	v_add_f64 v[178:179], v[178:179], v[182:183]
	v_fma_f64 v[48:49], s[16:17], v[102:103], v[154:155]
	v_add_f64 v[50:51], v[50:51], v[160:161]
	v_mul_f64 v[160:161], v[142:143], s[20:21]
	v_fma_f64 v[168:169], v[106:107], s[12:13], -v[164:165]
	v_add_f64 v[174:175], v[174:175], v[178:179]
	v_add_f64 v[50:51], v[48:49], v[50:51]
	v_fma_f64 v[48:49], v[104:105], s[16:17], -v[160:161]
	v_add_f64 v[168:169], v[168:169], v[174:175]
	v_add_f64 v[48:49], v[48:49], v[168:169]
	v_fma_f64 v[168:169], v[78:79], s[6:7], -v[170:171]
	v_fma_f64 v[166:167], v[108:109], s[26:27], -v[166:167]
	v_add_f64 v[168:169], v[74:75], v[168:169]
	v_fma_f64 v[162:163], v[112:113], s[10:11], -v[162:163]
	v_add_f64 v[166:167], v[166:167], v[168:169]
	;; [unrolled: 2-line block ×5, first 2 shown]
	v_fmac_f64_e32 v[184:185], s[6:7], v[138:139]
	v_add_f64 v[156:157], v[154:155], v[156:157]
	v_fmac_f64_e32 v[180:181], s[26:27], v[136:137]
	v_add_f64 v[154:155], v[72:73], v[184:185]
	v_mul_f64 v[178:179], v[140:141], s[30:31]
	v_fmac_f64_e32 v[176:177], s[10:11], v[134:135]
	v_add_f64 v[154:155], v[180:181], v[154:155]
	v_mul_f64 v[174:175], v[114:115], s[14:15]
	v_fma_f64 v[180:181], s[12:13], v[78:79], v[178:179]
	v_mul_f64 v[194:195], v[152:153], s[30:31]
	v_fmac_f64_e32 v[172:173], s[18:19], v[110:111]
	v_add_f64 v[154:155], v[176:177], v[154:155]
	v_mul_f64 v[170:171], v[118:119], s[28:29]
	v_fma_f64 v[176:177], s[10:11], v[108:109], v[174:175]
	v_add_f64 v[180:181], v[74:75], v[180:181]
	v_mul_f64 v[190:191], v[150:151], s[14:15]
	v_fma_f64 v[196:197], v[138:139], s[12:13], -v[194:195]
	v_fmac_f64_e32 v[164:165], s[12:13], v[106:107]
	v_add_f64 v[154:155], v[172:173], v[154:155]
	v_mul_f64 v[166:167], v[122:123], s[38:39]
	v_fma_f64 v[172:173], s[26:27], v[112:113], v[170:171]
	v_add_f64 v[176:177], v[176:177], v[180:181]
	v_mul_f64 v[184:185], v[148:149], s[28:29]
	v_fma_f64 v[192:193], v[136:137], s[10:11], -v[190:191]
	v_add_f64 v[196:197], v[72:73], v[196:197]
	v_fmac_f64_e32 v[160:161], s[16:17], v[104:105]
	v_add_f64 v[154:155], v[164:165], v[154:155]
	v_mul_f64 v[164:165], v[132:133], s[22:23]
	v_fma_f64 v[168:169], s[16:17], v[116:117], v[166:167]
	v_add_f64 v[172:173], v[172:173], v[176:177]
	v_mul_f64 v[180:181], v[146:147], s[38:39]
	v_fma_f64 v[188:189], v[134:135], s[26:27], -v[184:185]
	v_add_f64 v[192:193], v[192:193], v[196:197]
	v_add_f64 v[154:155], v[160:161], v[154:155]
	v_mul_f64 v[162:163], v[130:131], s[24:25]
	v_fma_f64 v[160:161], s[6:7], v[120:121], v[164:165]
	v_add_f64 v[168:169], v[168:169], v[172:173]
	v_mul_f64 v[172:173], v[144:145], s[22:23]
	v_fma_f64 v[182:183], v[110:111], s[16:17], -v[180:181]
	v_add_f64 v[188:189], v[188:189], v[192:193]
	v_fma_f64 v[158:159], s[18:19], v[102:103], v[162:163]
	v_add_f64 v[160:161], v[160:161], v[168:169]
	v_mul_f64 v[168:169], v[142:143], s[24:25]
	v_fma_f64 v[176:177], v[106:107], s[6:7], -v[172:173]
	v_add_f64 v[182:183], v[182:183], v[188:189]
	v_add_f64 v[160:161], v[158:159], v[160:161]
	v_fma_f64 v[158:159], v[104:105], s[18:19], -v[168:169]
	v_add_f64 v[176:177], v[176:177], v[182:183]
	v_add_f64 v[158:159], v[158:159], v[176:177]
	v_fma_f64 v[176:177], v[78:79], s[12:13], -v[178:179]
	s_mov_b32 s25, 0xbfddbe06
	v_fma_f64 v[174:175], v[108:109], s[10:11], -v[174:175]
	v_add_f64 v[176:177], v[74:75], v[176:177]
	v_mul_f64 v[140:141], v[140:141], s[24:25]
	v_add_f64 v[174:175], v[174:175], v[176:177]
	v_fma_f64 v[176:177], s[18:19], v[78:79], v[140:141]
	v_fma_f64 v[78:79], v[78:79], s[18:19], -v[140:141]
	v_add_f64 v[176:177], v[74:75], v[176:177]
	v_add_f64 v[78:79], v[74:75], v[78:79]
	;; [unrolled: 1-line block ×6, first 2 shown]
	v_fma_f64 v[170:171], v[112:113], s[26:27], -v[170:171]
	v_add_f64 v[74:75], v[74:75], v[100:101]
	v_fma_f64 v[166:167], v[116:117], s[16:17], -v[166:167]
	v_add_f64 v[170:171], v[170:171], v[174:175]
	v_add_f64 v[74:75], v[74:75], v[96:97]
	v_fma_f64 v[164:165], v[120:121], s[6:7], -v[164:165]
	v_add_f64 v[166:167], v[166:167], v[170:171]
	;; [unrolled: 3-line block ×3, first 2 shown]
	v_fmac_f64_e32 v[194:195], s[12:13], v[138:139]
	v_add_f64 v[74:75], v[74:75], v[92:93]
	v_add_f64 v[164:165], v[162:163], v[164:165]
	v_fmac_f64_e32 v[190:191], s[10:11], v[136:137]
	v_add_f64 v[162:163], v[72:73], v[194:195]
	v_add_f64 v[70:71], v[74:75], v[70:71]
	;; [unrolled: 3-line block ×3, first 2 shown]
	v_fmac_f64_e32 v[180:181], s[16:17], v[110:111]
	v_add_f64 v[162:163], v[184:185], v[162:163]
	v_mul_f64 v[114:115], v[114:115], s[30:31]
	v_add_f64 v[58:59], v[62:63], v[58:59]
	v_add_f64 v[62:63], v[72:73], v[80:81]
	v_fmac_f64_e32 v[172:173], s[6:7], v[106:107]
	v_add_f64 v[162:163], v[180:181], v[162:163]
	v_mul_f64 v[118:119], v[118:119], s[36:37]
	v_fma_f64 v[174:175], s[12:13], v[108:109], v[114:115]
	v_fma_f64 v[108:109], v[108:109], s[12:13], -v[114:115]
	v_add_f64 v[62:63], v[62:63], v[84:85]
	v_fmac_f64_e32 v[168:169], s[18:19], v[104:105]
	v_add_f64 v[162:163], v[172:173], v[162:163]
	v_mul_f64 v[122:123], v[122:123], s[14:15]
	v_fma_f64 v[172:173], s[6:7], v[112:113], v[118:119]
	v_fma_f64 v[112:113], v[112:113], s[6:7], -v[118:119]
	v_add_f64 v[78:79], v[108:109], v[78:79]
	v_add_f64 v[62:63], v[62:63], v[88:89]
	;; [unrolled: 1-line block ×3, first 2 shown]
	v_mul_f64 v[168:169], v[132:133], s[20:21]
	v_fma_f64 v[170:171], s[10:11], v[116:117], v[122:123]
	v_fma_f64 v[116:117], v[116:117], s[10:11], -v[122:123]
	v_add_f64 v[78:79], v[112:113], v[78:79]
	v_add_f64 v[62:63], v[62:63], v[66:67]
	v_mul_f64 v[166:167], v[130:131], s[28:29]
	v_fma_f64 v[132:133], s[16:17], v[120:121], v[168:169]
	v_mul_f64 v[152:153], v[152:153], s[24:25]
	v_fma_f64 v[120:121], v[120:121], s[16:17], -v[168:169]
	v_add_f64 v[78:79], v[116:117], v[78:79]
	v_add_f64 v[52:53], v[62:63], v[52:53]
	v_fma_f64 v[130:131], s[26:27], v[102:103], v[166:167]
	v_mul_f64 v[150:151], v[150:151], s[30:31]
	v_fma_f64 v[178:179], v[138:139], s[18:19], -v[152:153]
	v_fma_f64 v[102:103], v[102:103], s[26:27], -v[166:167]
	v_add_f64 v[78:79], v[120:121], v[78:79]
	v_fmac_f64_e32 v[152:153], s[18:19], v[138:139]
	v_add_f64 v[52:53], v[52:53], v[126:127]
	v_add_f64 v[174:175], v[174:175], v[176:177]
	v_mul_f64 v[148:149], v[148:149], s[36:37]
	v_fma_f64 v[176:177], v[136:137], s[12:13], -v[150:151]
	v_add_f64 v[108:109], v[102:103], v[78:79]
	v_fmac_f64_e32 v[150:151], s[12:13], v[136:137]
	v_add_f64 v[78:79], v[72:73], v[152:153]
	v_add_f64 v[52:53], v[52:53], v[128:129]
	v_add_f64 v[172:173], v[172:173], v[174:175]
	v_mul_f64 v[146:147], v[146:147], s[14:15]
	v_fma_f64 v[174:175], v[134:135], s[6:7], -v[148:149]
	v_add_f64 v[178:179], v[72:73], v[178:179]
	v_fmac_f64_e32 v[148:149], s[6:7], v[134:135]
	v_add_f64 v[78:79], v[150:151], v[78:79]
	v_add_f64 v[52:53], v[52:53], v[54:55]
	v_add_f64 v[170:171], v[170:171], v[172:173]
	v_mul_f64 v[144:145], v[144:145], s[20:21]
	v_fma_f64 v[172:173], v[110:111], s[10:11], -v[146:147]
	v_add_f64 v[176:177], v[176:177], v[178:179]
	v_fmac_f64_e32 v[146:147], s[10:11], v[110:111]
	v_add_f64 v[78:79], v[148:149], v[78:79]
	v_add_f64 v[52:53], v[52:53], v[64:65]
	v_add_f64 v[132:133], v[132:133], v[170:171]
	v_mul_f64 v[142:143], v[142:143], s[28:29]
	v_fma_f64 v[170:171], v[106:107], s[16:17], -v[144:145]
	v_add_f64 v[174:175], v[174:175], v[176:177]
	v_fmac_f64_e32 v[144:145], s[16:17], v[106:107]
	v_add_f64 v[78:79], v[146:147], v[78:79]
	v_add_f64 v[52:53], v[52:53], v[68:69]
	v_add_f64 v[132:133], v[130:131], v[132:133]
	v_fma_f64 v[130:131], v[104:105], s[26:27], -v[142:143]
	v_add_f64 v[172:173], v[172:173], v[174:175]
	v_fmac_f64_e32 v[142:143], s[26:27], v[104:105]
	v_add_f64 v[78:79], v[144:145], v[78:79]
	v_add_f64 v[52:53], v[52:53], v[60:61]
	;; [unrolled: 1-line block ×6, first 2 shown]
	v_lshl_add_u32 v52, v125, 4, v198
	v_add_f64 v[130:131], v[130:131], v[170:171]
	ds_write_b128 v186, v[56:59]
	ds_write_b128 v52, v[106:109] offset:96
	ds_write_b128 v52, v[162:165] offset:192
	;; [unrolled: 1-line block ×12, first 2 shown]
.LBB0_9:
	s_or_b64 exec, exec, s[4:5]
	s_waitcnt lgkmcnt(0)
	s_barrier
	ds_read_b128 v[24:27], v186
	v_mad_u64_u32 v[38:39], s[4:5], s2, v124, 0
	v_mov_b32_e32 v28, v39
	v_mad_u64_u32 v[28:29], s[2:3], s3, v124, v[28:29]
	v_mov_b32_e32 v39, v28
	ds_read_b128 v[28:31], v186 offset:208
	s_waitcnt lgkmcnt(1)
	v_mul_f64 v[32:33], v[22:23], v[26:27]
	s_mov_b32 s2, 0x1a41a41a
	v_mul_f64 v[22:23], v[22:23], v[24:25]
	v_fmac_f64_e32 v[32:33], v[20:21], v[24:25]
	s_mov_b32 s3, 0x3f8a41a4
	v_fma_f64 v[20:21], v[20:21], v[26:27], -v[22:23]
	v_mul_f64 v[34:35], v[20:21], s[2:3]
	v_mad_u64_u32 v[20:21], s[4:5], s0, v125, 0
	v_mov_b32_e32 v22, v21
	v_mov_b32_e32 v36, s8
	;; [unrolled: 1-line block ×3, first 2 shown]
	v_mad_u64_u32 v[22:23], s[4:5], s1, v125, v[22:23]
	v_mov_b32_e32 v21, v22
	v_lshl_add_u64 v[22:23], v[38:39], 4, v[36:37]
	v_lshl_add_u64 v[24:25], v[20:21], 4, v[22:23]
	s_waitcnt lgkmcnt(0)
	v_mul_f64 v[20:21], v[14:15], v[30:31]
	v_mul_f64 v[14:15], v[14:15], v[28:29]
	v_fmac_f64_e32 v[20:21], v[12:13], v[28:29]
	v_fma_f64 v[12:13], v[12:13], v[30:31], -v[14:15]
	v_mov_b32_e32 v30, 0xd0
	v_mul_f64 v[22:23], v[12:13], s[2:3]
	v_mad_u64_u32 v[28:29], s[4:5], s0, v30, v[24:25]
	ds_read_b128 v[12:15], v186 offset:416
	s_mul_i32 s6, s1, 0xd0
	v_mul_f64 v[32:33], v[32:33], s[2:3]
	v_mul_f64 v[20:21], v[20:21], s[2:3]
	v_add_u32_e32 v29, s6, v29
	global_store_dwordx4 v[24:25], v[32:35], off
	global_store_dwordx4 v[28:29], v[20:23], off
	ds_read_b128 v[20:23], v186 offset:624
	s_waitcnt lgkmcnt(1)
	v_mul_f64 v[24:25], v[2:3], v[14:15]
	v_mul_f64 v[2:3], v[2:3], v[12:13]
	v_fmac_f64_e32 v[24:25], v[0:1], v[12:13]
	v_fma_f64 v[0:1], v[0:1], v[14:15], -v[2:3]
	v_mad_u64_u32 v[28:29], s[4:5], s0, v30, v[28:29]
	v_mul_f64 v[26:27], v[0:1], s[2:3]
	v_add_u32_e32 v29, s6, v29
	s_waitcnt lgkmcnt(0)
	v_mul_f64 v[0:1], v[18:19], v[22:23]
	v_mul_f64 v[2:3], v[18:19], v[20:21]
	v_fmac_f64_e32 v[0:1], v[16:17], v[20:21]
	v_fma_f64 v[2:3], v[16:17], v[22:23], -v[2:3]
	ds_read_b128 v[12:15], v186 offset:832
	v_mad_u64_u32 v[20:21], s[4:5], s0, v30, v[28:29]
	v_mul_f64 v[24:25], v[24:25], s[2:3]
	v_mul_f64 v[0:1], v[0:1], s[2:3]
	;; [unrolled: 1-line block ×3, first 2 shown]
	v_add_u32_e32 v21, s6, v21
	global_store_dwordx4 v[28:29], v[24:27], off
	global_store_dwordx4 v[20:21], v[0:3], off
	ds_read_b128 v[0:3], v186 offset:1040
	s_waitcnt lgkmcnt(1)
	v_mul_f64 v[6:7], v[254:255], v[12:13]
	v_fma_f64 v[4:5], v[252:253], v[14:15], -v[6:7]
	v_mul_f64 v[16:17], v[254:255], v[14:15]
	v_mul_f64 v[18:19], v[4:5], s[2:3]
	s_waitcnt lgkmcnt(0)
	v_mul_f64 v[4:5], v[10:11], v[2:3]
	v_fmac_f64_e32 v[16:17], v[252:253], v[12:13]
	v_mad_u64_u32 v[12:13], s[4:5], s0, v30, v[20:21]
	v_fmac_f64_e32 v[4:5], v[8:9], v[0:1]
	v_mul_f64 v[0:1], v[10:11], v[0:1]
	v_add_u32_e32 v13, s6, v13
	v_fma_f64 v[0:1], v[8:9], v[2:3], -v[0:1]
	v_mul_f64 v[6:7], v[0:1], s[2:3]
	v_mad_u64_u32 v[0:1], s[0:1], s0, v30, v[12:13]
	v_mul_f64 v[16:17], v[16:17], s[2:3]
	v_mul_f64 v[4:5], v[4:5], s[2:3]
	v_add_u32_e32 v1, s6, v1
	global_store_dwordx4 v[12:13], v[16:19], off
	global_store_dwordx4 v[0:1], v[4:7], off
.LBB0_10:
	s_endpgm
	.section	.rodata,"a",@progbits
	.p2align	6, 0x0
	.amdhsa_kernel bluestein_single_back_len78_dim1_dp_op_CI_CI
		.amdhsa_group_segment_fixed_size 23712
		.amdhsa_private_segment_fixed_size 0
		.amdhsa_kernarg_size 104
		.amdhsa_user_sgpr_count 2
		.amdhsa_user_sgpr_dispatch_ptr 0
		.amdhsa_user_sgpr_queue_ptr 0
		.amdhsa_user_sgpr_kernarg_segment_ptr 1
		.amdhsa_user_sgpr_dispatch_id 0
		.amdhsa_user_sgpr_kernarg_preload_length 0
		.amdhsa_user_sgpr_kernarg_preload_offset 0
		.amdhsa_user_sgpr_private_segment_size 0
		.amdhsa_uses_dynamic_stack 0
		.amdhsa_enable_private_segment 0
		.amdhsa_system_sgpr_workgroup_id_x 1
		.amdhsa_system_sgpr_workgroup_id_y 0
		.amdhsa_system_sgpr_workgroup_id_z 0
		.amdhsa_system_sgpr_workgroup_info 0
		.amdhsa_system_vgpr_workitem_id 0
		.amdhsa_next_free_vgpr 332
		.amdhsa_next_free_sgpr 42
		.amdhsa_accum_offset 256
		.amdhsa_reserve_vcc 1
		.amdhsa_float_round_mode_32 0
		.amdhsa_float_round_mode_16_64 0
		.amdhsa_float_denorm_mode_32 3
		.amdhsa_float_denorm_mode_16_64 3
		.amdhsa_dx10_clamp 1
		.amdhsa_ieee_mode 1
		.amdhsa_fp16_overflow 0
		.amdhsa_tg_split 0
		.amdhsa_exception_fp_ieee_invalid_op 0
		.amdhsa_exception_fp_denorm_src 0
		.amdhsa_exception_fp_ieee_div_zero 0
		.amdhsa_exception_fp_ieee_overflow 0
		.amdhsa_exception_fp_ieee_underflow 0
		.amdhsa_exception_fp_ieee_inexact 0
		.amdhsa_exception_int_div_zero 0
	.end_amdhsa_kernel
	.text
.Lfunc_end0:
	.size	bluestein_single_back_len78_dim1_dp_op_CI_CI, .Lfunc_end0-bluestein_single_back_len78_dim1_dp_op_CI_CI
                                        ; -- End function
	.section	.AMDGPU.csdata,"",@progbits
; Kernel info:
; codeLenInByte = 12644
; NumSgprs: 48
; NumVgprs: 256
; NumAgprs: 76
; TotalNumVgprs: 332
; ScratchSize: 0
; MemoryBound: 0
; FloatMode: 240
; IeeeMode: 1
; LDSByteSize: 23712 bytes/workgroup (compile time only)
; SGPRBlocks: 5
; VGPRBlocks: 41
; NumSGPRsForWavesPerEU: 48
; NumVGPRsForWavesPerEU: 332
; AccumOffset: 256
; Occupancy: 1
; WaveLimiterHint : 1
; COMPUTE_PGM_RSRC2:SCRATCH_EN: 0
; COMPUTE_PGM_RSRC2:USER_SGPR: 2
; COMPUTE_PGM_RSRC2:TRAP_HANDLER: 0
; COMPUTE_PGM_RSRC2:TGID_X_EN: 1
; COMPUTE_PGM_RSRC2:TGID_Y_EN: 0
; COMPUTE_PGM_RSRC2:TGID_Z_EN: 0
; COMPUTE_PGM_RSRC2:TIDIG_COMP_CNT: 0
; COMPUTE_PGM_RSRC3_GFX90A:ACCUM_OFFSET: 63
; COMPUTE_PGM_RSRC3_GFX90A:TG_SPLIT: 0
	.text
	.p2alignl 6, 3212836864
	.fill 256, 4, 3212836864
	.type	__hip_cuid_7501b2980c4cba02,@object ; @__hip_cuid_7501b2980c4cba02
	.section	.bss,"aw",@nobits
	.globl	__hip_cuid_7501b2980c4cba02
__hip_cuid_7501b2980c4cba02:
	.byte	0                               ; 0x0
	.size	__hip_cuid_7501b2980c4cba02, 1

	.ident	"AMD clang version 19.0.0git (https://github.com/RadeonOpenCompute/llvm-project roc-6.4.0 25133 c7fe45cf4b819c5991fe208aaa96edf142730f1d)"
	.section	".note.GNU-stack","",@progbits
	.addrsig
	.addrsig_sym __hip_cuid_7501b2980c4cba02
	.amdgpu_metadata
---
amdhsa.kernels:
  - .agpr_count:     76
    .args:
      - .actual_access:  read_only
        .address_space:  global
        .offset:         0
        .size:           8
        .value_kind:     global_buffer
      - .actual_access:  read_only
        .address_space:  global
        .offset:         8
        .size:           8
        .value_kind:     global_buffer
      - .actual_access:  read_only
        .address_space:  global
        .offset:         16
        .size:           8
        .value_kind:     global_buffer
      - .actual_access:  read_only
        .address_space:  global
        .offset:         24
        .size:           8
        .value_kind:     global_buffer
      - .actual_access:  read_only
        .address_space:  global
        .offset:         32
        .size:           8
        .value_kind:     global_buffer
      - .offset:         40
        .size:           8
        .value_kind:     by_value
      - .address_space:  global
        .offset:         48
        .size:           8
        .value_kind:     global_buffer
      - .address_space:  global
        .offset:         56
        .size:           8
        .value_kind:     global_buffer
      - .address_space:  global
        .offset:         64
        .size:           8
        .value_kind:     global_buffer
      - .address_space:  global
        .offset:         72
        .size:           8
        .value_kind:     global_buffer
      - .offset:         80
        .size:           4
        .value_kind:     by_value
      - .address_space:  global
        .offset:         88
        .size:           8
        .value_kind:     global_buffer
      - .address_space:  global
        .offset:         96
        .size:           8
        .value_kind:     global_buffer
    .group_segment_fixed_size: 23712
    .kernarg_segment_align: 8
    .kernarg_segment_size: 104
    .language:       OpenCL C
    .language_version:
      - 2
      - 0
    .max_flat_workgroup_size: 247
    .name:           bluestein_single_back_len78_dim1_dp_op_CI_CI
    .private_segment_fixed_size: 0
    .sgpr_count:     48
    .sgpr_spill_count: 0
    .symbol:         bluestein_single_back_len78_dim1_dp_op_CI_CI.kd
    .uniform_work_group_size: 1
    .uses_dynamic_stack: false
    .vgpr_count:     332
    .vgpr_spill_count: 0
    .wavefront_size: 64
amdhsa.target:   amdgcn-amd-amdhsa--gfx950
amdhsa.version:
  - 1
  - 2
...

	.end_amdgpu_metadata
